;; amdgpu-corpus repo=ROCm/MIOpen kind=compiled arch=gfx906 opt=O3
	.amdgcn_target "amdgcn-amd-amdhsa--gfx906"
	.amdhsa_code_object_version 6
	.text
	.protected	naive_conv_ab_packed_fwd_nchw_float_double_float ; -- Begin function naive_conv_ab_packed_fwd_nchw_float_double_float
	.globl	naive_conv_ab_packed_fwd_nchw_float_double_float
	.p2align	8
	.type	naive_conv_ab_packed_fwd_nchw_float_double_float,@function
naive_conv_ab_packed_fwd_nchw_float_double_float: ; @naive_conv_ab_packed_fwd_nchw_float_double_float
; %bb.0:
	s_load_dwordx16 s[8:23], s[4:5], 0xa0
	s_abs_i32 s2, s6
	s_waitcnt lgkmcnt(0)
	s_abs_i32 s0, s11
	v_cvt_f32_u32_e32 v1, s0
	s_sub_i32 s1, 0, s0
	s_mul_i32 s34, s11, s10
	s_mul_i32 s33, s14, s13
	v_rcp_iflag_f32_e32 v1, v1
	v_cmp_gt_i32_e32 vcc, s33, v0
	v_mul_f32_e32 v1, 0x4f7ffffe, v1
	v_cvt_u32_f32_e32 v1, v1
	v_readfirstlane_b32 s3, v1
	s_mul_i32 s1, s1, s3
	s_mul_hi_u32 s1, s3, s1
	s_add_i32 s3, s3, s1
	s_mul_hi_u32 s1, s2, s3
	s_mul_i32 s3, s1, s0
	s_sub_i32 s3, s2, s3
	s_add_i32 s7, s1, 1
	s_sub_i32 s24, s3, s0
	s_cmp_ge_u32 s3, s0
	s_cselect_b32 s1, s7, s1
	s_cselect_b32 s3, s24, s3
	s_add_i32 s7, s1, 1
	s_cmp_ge_u32 s3, s0
	s_cselect_b32 s35, s7, s1
	s_abs_i32 s7, s10
	s_abs_i32 s3, s34
	v_cvt_f32_u32_e32 v1, s7
	v_cvt_f32_u32_e32 v2, s3
	v_rcp_iflag_f32_e32 v1, v1
	v_rcp_iflag_f32_e32 v2, v2
	v_mul_f32_e32 v1, 0x4f7ffffe, v1
	v_mul_f32_e32 v2, 0x4f7ffffe, v2
	v_cvt_u32_f32_e32 v1, v1
	v_cvt_u32_f32_e32 v2, v2
	v_readfirstlane_b32 s36, v1
	v_readfirstlane_b32 s10, v2
	s_and_saveexec_b64 s[0:1], vcc
	s_cbranch_execz .LBB0_17
; %bb.1:
	s_ashr_i32 s37, s6, 31
	s_ashr_i32 s38, s11, 31
	s_xor_b32 s38, s37, s38
	s_sub_i32 s40, 0, s7
	s_xor_b32 s35, s35, s38
	s_mul_i32 s40, s40, s36
	s_sub_i32 s35, s35, s38
	s_mul_hi_u32 s40, s36, s40
	s_abs_i32 s39, s35
	s_add_i32 s36, s36, s40
	s_mul_hi_u32 s36, s39, s36
	s_sub_i32 s40, 0, s3
	s_ashr_i32 s38, s35, 31
	s_mul_i32 s40, s40, s10
	s_mul_i32 s35, s35, s11
	;; [unrolled: 1-line block ×3, first 2 shown]
	s_mul_hi_u32 s40, s10, s40
	s_sub_i32 s6, s6, s35
	s_sub_i32 s35, s39, s36
	s_ashr_i32 s34, s34, 31
	s_add_i32 s10, s10, s40
	s_sub_i32 s36, s35, s7
	s_cmp_ge_u32 s35, s7
	s_cselect_b32 s35, s36, s35
	s_sub_i32 s36, s35, s7
	s_mul_hi_u32 s10, s2, s10
	s_cmp_ge_u32 s35, s7
	s_cselect_b32 s7, s36, s35
	s_mul_i32 s35, s10, s3
	s_xor_b32 s7, s7, s38
	s_sub_i32 s2, s2, s35
	s_sub_i32 s7, s7, s38
	s_xor_b32 s34, s37, s34
	s_add_i32 s35, s10, 1
	s_sub_i32 s36, s2, s3
	s_cmp_ge_u32 s2, s3
	s_cselect_b32 s10, s35, s10
	s_cselect_b32 s2, s36, s2
	s_add_i32 s35, s10, 1
	s_cmp_ge_u32 s2, s3
	s_cselect_b32 s2, s35, s10
	s_xor_b32 s2, s2, s34
	s_mul_i32 s40, s23, s11
	s_mul_i32 s23, s23, s12
	s_sub_i32 s10, s2, s34
	s_mul_i32 s3, s7, s23
	s_ashr_i32 s44, s8, 31
	s_ashr_i32 s45, s9, 31
	s_ashr_i32 s34, s12, 31
	s_mul_i32 s35, s10, s12
	s_mul_hi_i32 s2, s7, s23
	s_mul_hi_i32 s23, s10, s12
	s_add_u32 s35, s35, s3
	s_addc_u32 s2, s23, s2
	s_mul_i32 s23, s9, s8
	s_load_dwordx8 s[24:31], s[4:5], 0x0
	s_load_dwordx2 s[0:1], s[4:5], 0x20
	s_mul_hi_i32 s3, s9, s8
	s_mul_i32 s2, s23, s2
	s_mul_hi_u32 s36, s23, s35
	s_add_i32 s2, s36, s2
	s_mul_i32 s3, s3, s35
	s_add_i32 s3, s2, s3
	s_mul_i32 s2, s23, s35
	s_lshl_b64 s[2:3], s[2:3], 2
	s_waitcnt lgkmcnt(0)
	s_add_u32 s46, s24, s2
	s_addc_u32 s47, s25, s3
	s_mul_hi_i32 s2, s10, s11
	s_mul_i32 s10, s10, s11
	s_ashr_i32 s23, s22, 31
	s_ashr_i32 s3, s6, 31
	s_add_u32 s24, s10, s6
	s_addc_u32 s25, s2, s3
	s_mul_hi_i32 s2, s7, s40
	s_mul_i32 s7, s7, s40
	s_ashr_i32 s48, s14, 31
	s_add_u32 s6, s24, s7
	s_addc_u32 s2, s25, s2
	s_mul_hi_i32 s3, s14, s13
	s_mul_i32 s2, s33, s2
	s_mul_hi_u32 s7, s33, s6
	s_add_i32 s2, s7, s2
	s_mul_i32 s3, s3, s6
	s_add_i32 s3, s2, s3
	s_mul_i32 s2, s33, s6
	s_lshl_b64 s[2:3], s[2:3], 2
	s_add_u32 s13, s0, s2
	s_addc_u32 s49, s1, s3
	s_cmp_gt_i32 s12, 0
	s_cselect_b64 s[2:3], -1, 0
	s_cmp_gt_i32 s21, 0
	s_load_dword s35, s[4:5], 0xec
	s_cselect_b64 s[4:5], -1, 0
	s_cmp_gt_i32 s22, 0
	s_cselect_b64 s[6:7], -1, 0
	s_abs_i32 s50, s14
	v_cvt_f32_u32_e32 v1, s50
	v_cmp_neq_f64_e64 s[0:1], s[28:29], 1.0
	v_cmp_neq_f64_e64 s[10:11], s[30:31], 0
	s_sub_i32 s36, 0, s50
	v_rcp_iflag_f32_e32 v1, v1
	s_mov_b32 s53, s21
	s_waitcnt lgkmcnt(0)
	s_and_b32 s54, s35, 0xffff
	s_mov_b32 s51, s8
	v_mul_f32_e32 v1, 0x4f7ffffe, v1
	v_cvt_u32_f32_e32 v1, v1
	s_or_b64 s[10:11], s[0:1], s[10:11]
	s_mul_i32 s0, s22, s21
	s_mul_i32 s1, s0, s25
	v_mul_lo_u32 v2, s36, v1
	s_mul_hi_u32 s25, s0, s24
	s_add_i32 s25, s25, s1
	s_mul_hi_i32 s1, s22, s21
	s_mul_i32 s21, s1, s24
	s_mul_i32 s24, s0, s24
	s_add_i32 s21, s25, s21
	s_mul_i32 s25, s24, s34
	s_mul_hi_u32 s34, s24, s12
	v_mul_hi_u32 v2, v1, v2
	s_add_i32 s25, s34, s25
	s_mul_i32 s21, s21, s12
	s_add_i32 s25, s25, s21
	s_mul_i32 s24, s24, s12
	s_lshl_b64 s[24:25], s[24:25], 2
	s_add_u32 s24, s26, s24
	s_mov_b32 s52, s9
	s_mov_b64 s[8:9], 0
	v_add_u32_e32 v7, v1, v2
	v_mov_b32_e32 v2, 0
	s_addc_u32 s25, s27, s25
	s_lshl_b64 s[26:27], s[0:1], 2
	s_lshl_b64 s[34:35], s[22:23], 2
	s_branch .LBB0_3
.LBB0_2:                                ;   in Loop: Header=BB0_3 Depth=1
	v_cvt_f32_f64_e32 v1, v[3:4]
	v_add_u32_e32 v0, s54, v0
	v_cmp_le_i32_e32 vcc, s33, v0
	s_or_b64 s[8:9], vcc, s[8:9]
	global_store_dword v[5:6], v1, off
	s_andn2_b64 exec, exec, s[8:9]
	s_cbranch_execz .LBB0_17
.LBB0_3:                                ; =>This Loop Header: Depth=1
                                        ;     Child Loop BB0_6 Depth 2
                                        ;       Child Loop BB0_9 Depth 3
                                        ;         Child Loop BB0_12 Depth 4
	v_sub_u32_e32 v1, 0, v0
	v_max_i32_e32 v1, v0, v1
	v_mul_hi_u32 v3, v1, v7
	v_ashrrev_i32_e32 v5, 31, v0
	v_xor_b32_e32 v5, s48, v5
	v_mul_lo_u32 v4, v3, s50
	v_add_u32_e32 v6, 1, v3
	v_sub_u32_e32 v1, v1, v4
	v_cmp_le_u32_e32 vcc, s50, v1
	v_subrev_u32_e32 v4, s50, v1
	v_cndmask_b32_e32 v3, v3, v6, vcc
	v_cndmask_b32_e32 v1, v1, v4, vcc
	v_add_u32_e32 v4, 1, v3
	v_cmp_le_u32_e32 vcc, s50, v1
	v_cndmask_b32_e32 v1, v3, v4, vcc
	v_xor_b32_e32 v1, v1, v5
	v_sub_u32_e32 v6, v1, v5
	v_mul_lo_u32 v1, v6, s14
	s_andn2_b64 vcc, exec, s[2:3]
	v_sub_u32_e32 v5, v0, v1
	s_cbranch_vccnz .LBB0_14
; %bb.4:                                ;   in Loop: Header=BB0_3 Depth=1
	v_mul_lo_u32 v1, v6, s15
	v_mul_lo_u32 v9, v5, s16
	v_mov_b32_e32 v3, 0
	v_mov_b32_e32 v4, 0
	v_subrev_u32_e32 v8, s19, v1
	v_subrev_u32_e32 v9, s20, v9
	s_mov_b32 s21, 0
	s_mov_b64 s[36:37], s[24:25]
	s_branch .LBB0_6
.LBB0_5:                                ;   in Loop: Header=BB0_6 Depth=2
	s_add_i32 s21, s21, 1
	s_add_u32 s36, s36, s26
	s_addc_u32 s37, s37, s27
	s_cmp_eq_u32 s21, s12
	s_cbranch_scc1 .LBB0_15
.LBB0_6:                                ;   Parent Loop BB0_3 Depth=1
                                        ; =>  This Loop Header: Depth=2
                                        ;       Child Loop BB0_9 Depth 3
                                        ;         Child Loop BB0_12 Depth 4
	s_andn2_b64 vcc, exec, s[4:5]
	s_cbranch_vccnz .LBB0_5
; %bb.7:                                ;   in Loop: Header=BB0_6 Depth=2
	s_mul_i32 s0, s21, s44
	s_mul_hi_u32 s1, s21, s51
	s_add_i32 s23, s1, s0
	s_mul_i32 s55, s21, s51
	s_mov_b32 s56, 0
	s_mov_b64 s[38:39], s[36:37]
	s_branch .LBB0_9
.LBB0_8:                                ;   in Loop: Header=BB0_9 Depth=3
	s_add_i32 s56, s56, 1
	s_add_u32 s38, s38, s34
	s_addc_u32 s39, s39, s35
	s_cmp_eq_u32 s56, s53
	s_cbranch_scc1 .LBB0_5
.LBB0_9:                                ;   Parent Loop BB0_3 Depth=1
                                        ;     Parent Loop BB0_6 Depth=2
                                        ; =>    This Loop Header: Depth=3
                                        ;         Child Loop BB0_12 Depth 4
	s_andn2_b64 vcc, exec, s[6:7]
	s_cbranch_vccnz .LBB0_8
; %bb.10:                               ;   in Loop: Header=BB0_9 Depth=3
	s_mul_i32 s0, s56, s17
	v_add_u32_e32 v1, s0, v8
	v_mov_b32_e32 v10, s23
	v_add_co_u32_e32 v11, vcc, s55, v1
	v_addc_co_u32_e32 v10, vcc, 0, v10, vcc
	v_mul_lo_u32 v12, v10, s52
	v_mul_lo_u32 v13, v11, s45
	v_mad_u64_u32 v[10:11], s[0:1], v11, s52, 0
	v_cmp_gt_i32_e32 vcc, 0, v1
	v_cmp_le_i32_e64 s[0:1], s51, v1
	v_add3_u32 v11, v11, v13, v12
	v_lshlrev_b64 v[10:11], 2, v[10:11]
	s_or_b64 s[40:41], vcc, s[0:1]
	v_mov_b32_e32 v1, s47
	v_add_co_u32_e32 v10, vcc, s46, v10
	v_addc_co_u32_e32 v11, vcc, v1, v11, vcc
	v_mov_b32_e32 v1, v9
	s_mov_b64 s[42:43], s[38:39]
	s_mov_b32 s57, s22
	s_branch .LBB0_12
.LBB0_11:                               ;   in Loop: Header=BB0_12 Depth=4
	s_or_b64 exec, exec, s[0:1]
	s_add_i32 s57, s57, -1
	s_add_u32 s42, s42, 4
	s_addc_u32 s43, s43, 0
	s_cmp_eq_u32 s57, 0
	v_add_u32_e32 v1, s18, v1
	s_cbranch_scc1 .LBB0_8
.LBB0_12:                               ;   Parent Loop BB0_3 Depth=1
                                        ;     Parent Loop BB0_6 Depth=2
                                        ;       Parent Loop BB0_9 Depth=3
                                        ; =>      This Inner Loop Header: Depth=4
	v_cmp_gt_i32_e32 vcc, 0, v1
	v_cmp_le_i32_e64 s[0:1], s52, v1
	s_or_b64 s[0:1], vcc, s[0:1]
	s_nor_b64 s[58:59], s[40:41], s[0:1]
	s_and_saveexec_b64 s[0:1], s[58:59]
	s_cbranch_execz .LBB0_11
; %bb.13:                               ;   in Loop: Header=BB0_12 Depth=4
	v_lshlrev_b64 v[12:13], 2, v[1:2]
	s_load_dword s58, s[42:43], 0x0
	v_add_co_u32_e32 v12, vcc, v10, v12
	v_addc_co_u32_e32 v13, vcc, v11, v13, vcc
	global_load_dword v12, v[12:13], off
	s_waitcnt lgkmcnt(0)
	v_cvt_f64_f32_e32 v[14:15], s58
	s_waitcnt vmcnt(0)
	v_cvt_f64_f32_e32 v[12:13], v12
	v_fma_f64 v[3:4], v[12:13], v[14:15], v[3:4]
	s_branch .LBB0_11
.LBB0_14:                               ;   in Loop: Header=BB0_3 Depth=1
	v_mov_b32_e32 v3, 0
	v_mov_b32_e32 v4, 0
.LBB0_15:                               ;   in Loop: Header=BB0_3 Depth=1
	v_mad_i64_i32 v[8:9], s[0:1], v6, s14, 0
	v_ashrrev_i32_e32 v6, 31, v5
	v_lshlrev_b64 v[5:6], 2, v[5:6]
	v_lshlrev_b64 v[8:9], 2, v[8:9]
	v_mov_b32_e32 v1, s49
	v_add_co_u32_e32 v8, vcc, s13, v8
	v_addc_co_u32_e32 v1, vcc, v1, v9, vcc
	v_add_co_u32_e64 v5, s[0:1], v8, v5
	s_andn2_b64 vcc, exec, s[10:11]
	v_addc_co_u32_e64 v6, s[0:1], v1, v6, s[0:1]
	s_cbranch_vccnz .LBB0_2
; %bb.16:                               ;   in Loop: Header=BB0_3 Depth=1
	global_load_dword v1, v[5:6], off
	s_waitcnt vmcnt(0)
	v_cvt_f64_f32_e32 v[8:9], v1
	v_mul_f64 v[8:9], s[30:31], v[8:9]
	v_fma_f64 v[3:4], s[28:29], v[3:4], v[8:9]
	s_branch .LBB0_2
.LBB0_17:
	s_endpgm
	.section	.rodata,"a",@progbits
	.p2align	6, 0x0
	.amdhsa_kernel naive_conv_ab_packed_fwd_nchw_float_double_float
		.amdhsa_group_segment_fixed_size 0
		.amdhsa_private_segment_fixed_size 0
		.amdhsa_kernarg_size 480
		.amdhsa_user_sgpr_count 6
		.amdhsa_user_sgpr_private_segment_buffer 1
		.amdhsa_user_sgpr_dispatch_ptr 0
		.amdhsa_user_sgpr_queue_ptr 0
		.amdhsa_user_sgpr_kernarg_segment_ptr 1
		.amdhsa_user_sgpr_dispatch_id 0
		.amdhsa_user_sgpr_flat_scratch_init 0
		.amdhsa_user_sgpr_private_segment_size 0
		.amdhsa_uses_dynamic_stack 0
		.amdhsa_system_sgpr_private_segment_wavefront_offset 0
		.amdhsa_system_sgpr_workgroup_id_x 1
		.amdhsa_system_sgpr_workgroup_id_y 0
		.amdhsa_system_sgpr_workgroup_id_z 0
		.amdhsa_system_sgpr_workgroup_info 0
		.amdhsa_system_vgpr_workitem_id 0
		.amdhsa_next_free_vgpr 16
		.amdhsa_next_free_sgpr 60
		.amdhsa_reserve_vcc 1
		.amdhsa_reserve_flat_scratch 0
		.amdhsa_float_round_mode_32 0
		.amdhsa_float_round_mode_16_64 0
		.amdhsa_float_denorm_mode_32 3
		.amdhsa_float_denorm_mode_16_64 3
		.amdhsa_dx10_clamp 1
		.amdhsa_ieee_mode 1
		.amdhsa_fp16_overflow 0
		.amdhsa_exception_fp_ieee_invalid_op 0
		.amdhsa_exception_fp_denorm_src 0
		.amdhsa_exception_fp_ieee_div_zero 0
		.amdhsa_exception_fp_ieee_overflow 0
		.amdhsa_exception_fp_ieee_underflow 0
		.amdhsa_exception_fp_ieee_inexact 0
		.amdhsa_exception_int_div_zero 0
	.end_amdhsa_kernel
	.text
.Lfunc_end0:
	.size	naive_conv_ab_packed_fwd_nchw_float_double_float, .Lfunc_end0-naive_conv_ab_packed_fwd_nchw_float_double_float
                                        ; -- End function
	.set naive_conv_ab_packed_fwd_nchw_float_double_float.num_vgpr, 16
	.set naive_conv_ab_packed_fwd_nchw_float_double_float.num_agpr, 0
	.set naive_conv_ab_packed_fwd_nchw_float_double_float.numbered_sgpr, 60
	.set naive_conv_ab_packed_fwd_nchw_float_double_float.num_named_barrier, 0
	.set naive_conv_ab_packed_fwd_nchw_float_double_float.private_seg_size, 0
	.set naive_conv_ab_packed_fwd_nchw_float_double_float.uses_vcc, 1
	.set naive_conv_ab_packed_fwd_nchw_float_double_float.uses_flat_scratch, 0
	.set naive_conv_ab_packed_fwd_nchw_float_double_float.has_dyn_sized_stack, 0
	.set naive_conv_ab_packed_fwd_nchw_float_double_float.has_recursion, 0
	.set naive_conv_ab_packed_fwd_nchw_float_double_float.has_indirect_call, 0
	.section	.AMDGPU.csdata,"",@progbits
; Kernel info:
; codeLenInByte = 1344
; TotalNumSgprs: 64
; NumVgprs: 16
; ScratchSize: 0
; MemoryBound: 0
; FloatMode: 240
; IeeeMode: 1
; LDSByteSize: 0 bytes/workgroup (compile time only)
; SGPRBlocks: 7
; VGPRBlocks: 3
; NumSGPRsForWavesPerEU: 64
; NumVGPRsForWavesPerEU: 16
; Occupancy: 10
; WaveLimiterHint : 0
; COMPUTE_PGM_RSRC2:SCRATCH_EN: 0
; COMPUTE_PGM_RSRC2:USER_SGPR: 6
; COMPUTE_PGM_RSRC2:TRAP_HANDLER: 0
; COMPUTE_PGM_RSRC2:TGID_X_EN: 1
; COMPUTE_PGM_RSRC2:TGID_Y_EN: 0
; COMPUTE_PGM_RSRC2:TGID_Z_EN: 0
; COMPUTE_PGM_RSRC2:TIDIG_COMP_CNT: 0
	.text
	.protected	naive_conv_ab_nonpacked_fwd_nchw_float_double_float ; -- Begin function naive_conv_ab_nonpacked_fwd_nchw_float_double_float
	.globl	naive_conv_ab_nonpacked_fwd_nchw_float_double_float
	.p2align	8
	.type	naive_conv_ab_nonpacked_fwd_nchw_float_double_float,@function
naive_conv_ab_nonpacked_fwd_nchw_float_double_float: ; @naive_conv_ab_nonpacked_fwd_nchw_float_double_float
; %bb.0:
	s_load_dwordx8 s[24:31], s[4:5], 0xa0
	s_abs_i32 s7, s6
	s_waitcnt lgkmcnt(0)
	s_abs_i32 s1, s27
	v_cvt_f32_u32_e32 v1, s1
	s_sub_i32 s2, 0, s1
	s_mul_i32 s0, s27, s26
	s_mul_i32 s29, s30, s29
	v_rcp_iflag_f32_e32 v1, v1
	v_cmp_gt_i32_e32 vcc, s29, v0
	v_mul_f32_e32 v1, 0x4f7ffffe, v1
	v_cvt_u32_f32_e32 v1, v1
	v_readfirstlane_b32 s3, v1
	s_mul_i32 s2, s2, s3
	s_mul_hi_u32 s2, s3, s2
	s_add_i32 s3, s3, s2
	s_mul_hi_u32 s2, s7, s3
	s_mul_i32 s3, s2, s1
	s_sub_i32 s3, s7, s3
	s_add_i32 s8, s2, 1
	s_sub_i32 s9, s3, s1
	s_cmp_ge_u32 s3, s1
	s_cselect_b32 s2, s8, s2
	s_cselect_b32 s3, s9, s3
	s_add_i32 s8, s2, 1
	s_cmp_ge_u32 s3, s1
	s_cselect_b32 s1, s8, s2
	s_abs_i32 s33, s26
	s_abs_i32 s26, s0
	v_cvt_f32_u32_e32 v1, s33
	v_cvt_f32_u32_e32 v2, s26
	v_rcp_iflag_f32_e32 v1, v1
	v_rcp_iflag_f32_e32 v2, v2
	v_mul_f32_e32 v1, 0x4f7ffffe, v1
	v_mul_f32_e32 v2, 0x4f7ffffe, v2
	v_cvt_u32_f32_e32 v1, v1
	v_cvt_u32_f32_e32 v2, v2
	v_readfirstlane_b32 s3, v1
	v_readfirstlane_b32 s2, v2
	s_and_saveexec_b64 s[8:9], vcc
	s_cbranch_execz .LBB1_17
; %bb.1:
	s_load_dwordx8 s[36:43], s[4:5], 0x0
	s_load_dwordx2 s[34:35], s[4:5], 0x20
	s_load_dwordx8 s[44:51], s[4:5], 0xc0
	s_waitcnt lgkmcnt(0)
	s_ashr_i32 s51, s6, 31
	s_ashr_i32 s8, s27, 31
	s_xor_b32 s8, s51, s8
	s_xor_b32 s1, s1, s8
	s_sub_i32 s1, s1, s8
	s_sub_i32 s8, 0, s33
	s_mul_i32 s8, s8, s3
	s_mul_hi_u32 s8, s3, s8
	s_abs_i32 s55, s1
	s_add_i32 s3, s3, s8
	s_mul_hi_u32 s56, s55, s3
	s_ashr_i32 s57, s0, 31
	s_sub_i32 s0, 0, s26
	s_ashr_i32 s54, s1, 31
	s_mul_i32 s0, s0, s2
	s_mul_i32 s1, s1, s27
	;; [unrolled: 1-line block ×3, first 2 shown]
	s_mul_hi_u32 s0, s2, s0
	s_sub_i32 s62, s6, s1
	s_sub_i32 s6, s55, s56
	s_add_i32 s2, s2, s0
	s_sub_i32 s27, s6, s33
	s_cmp_ge_u32 s6, s33
	s_cselect_b32 s6, s27, s6
	s_sub_i32 s27, s6, s33
	s_mul_hi_u32 s58, s7, s2
	s_cmp_ge_u32 s6, s33
	s_cselect_b32 s6, s27, s6
	s_mul_i32 s33, s58, s26
	s_xor_b32 s6, s6, s54
	s_sub_i32 s7, s7, s33
	s_sub_i32 s27, s6, s54
	s_xor_b32 s6, s51, s57
	s_add_i32 s33, s58, 1
	s_sub_i32 s51, s7, s26
	s_cmp_ge_u32 s7, s26
	s_load_dwordx16 s[8:23], s[4:5], 0x28
	s_cselect_b32 s33, s33, s58
	s_cselect_b32 s7, s51, s7
	s_add_i32 s51, s33, 1
	s_cmp_ge_u32 s7, s26
	s_cselect_b32 s7, s51, s33
	s_xor_b32 s7, s7, s6
	s_ashr_i32 s26, s27, 31
	s_sub_i32 s63, s7, s6
	s_waitcnt lgkmcnt(0)
	s_mul_i32 s6, s16, s26
	s_mul_hi_u32 s7, s16, s27
	s_add_i32 s6, s7, s6
	s_mul_i32 s7, s17, s27
	s_ashr_i32 s64, s63, 31
	s_load_dwordx2 s[52:53], s[4:5], 0x98
	s_load_dwordx4 s[0:3], s[4:5], 0x88
	s_add_i32 s7, s6, s7
	s_mul_i32 s6, s16, s27
	s_mul_i32 s16, s14, s64
	s_mul_hi_u32 s17, s14, s63
	s_add_i32 s16, s17, s16
	s_mul_i32 s15, s15, s63
	s_add_i32 s15, s16, s15
	s_lshl_b64 s[6:7], s[6:7], 2
	s_mul_i32 s14, s14, s63
	s_add_u32 s16, s36, s6
	s_addc_u32 s17, s37, s7
	s_lshl_b64 s[6:7], s[14:15], 2
	s_add_u32 s33, s16, s6
	s_waitcnt lgkmcnt(0)
	s_mul_i32 s14, s2, s64
	s_mul_hi_u32 s15, s2, s63
	s_addc_u32 s51, s17, s7
	s_ashr_i32 s36, s62, 31
	s_mul_i32 s6, s52, s26
	s_mul_hi_u32 s7, s52, s27
	s_add_i32 s14, s15, s14
	s_mul_i32 s3, s3, s63
	s_add_i32 s6, s7, s6
	s_mul_i32 s7, s53, s27
	;; [unrolled: 2-line block ×3, first 2 shown]
	s_mul_hi_u32 s15, s0, s62
	s_add_i32 s7, s6, s7
	s_mul_i32 s6, s52, s27
	s_add_i32 s14, s15, s14
	s_mul_i32 s1, s1, s62
	s_add_i32 s1, s14, s1
	s_lshl_b64 s[6:7], s[6:7], 2
	s_mul_i32 s2, s2, s63
	s_add_u32 s6, s34, s6
	s_addc_u32 s7, s35, s7
	s_lshl_b64 s[2:3], s[2:3], 2
	v_cmp_neq_f64_e64 s[16:17], s[40:41], 1.0
	v_cmp_neq_f64_e64 s[26:27], s[42:43], 0
	s_mul_i32 s0, s0, s62
	s_add_u32 s2, s6, s2
	s_addc_u32 s3, s7, s3
	s_lshl_b64 s[0:1], s[0:1], 2
	s_add_u32 s60, s2, s0
	s_addc_u32 s61, s3, s1
	s_cmp_gt_i32 s28, 0
	s_cselect_b64 s[2:3], -1, 0
	s_cmp_gt_i32 s49, 0
	s_cselect_b64 s[6:7], -1, 0
	;; [unrolled: 2-line block ×3, first 2 shown]
	s_or_b64 s[16:17], s[16:17], s[26:27]
	s_load_dword s26, s[4:5], 0xec
	s_load_dwordx8 s[52:59], s[4:5], 0x68
	s_waitcnt lgkmcnt(0)
	s_mul_i32 s0, s52, s36
	s_mul_hi_u32 s1, s52, s62
	s_add_i32 s0, s1, s0
	s_mul_i32 s1, s53, s62
	s_add_i32 s1, s0, s1
	s_mul_i32 s0, s52, s62
	s_abs_i32 s62, s30
	v_cvt_f32_u32_e32 v1, s62
	s_mul_i32 s4, s54, s64
	s_mul_hi_u32 s5, s54, s63
	s_add_i32 s4, s5, s4
	v_rcp_iflag_f32_e32 v1, v1
	s_mul_i32 s5, s55, s63
	s_add_i32 s5, s4, s5
	s_mul_i32 s4, s54, s63
	v_mul_f32_e32 v1, 0x4f7ffffe, v1
	v_cvt_u32_f32_e32 v1, v1
	s_and_b32 s54, s26, 0xffff
	s_sub_i32 s26, 0, s62
	s_lshl_b64 s[0:1], s[0:1], 2
	v_mul_lo_u32 v2, s26, v1
	s_lshl_b64 s[4:5], s[4:5], 2
	s_ashr_i32 s55, s30, 31
	s_add_u32 s0, s0, s4
	v_mul_hi_u32 v2, v1, v2
	s_addc_u32 s1, s1, s5
	s_add_u32 s4, s38, s0
	s_addc_u32 s5, s39, s1
	v_add_u32_e32 v5, v1, v2
	s_mov_b64 s[26:27], 0
	s_lshl_b64 s[22:23], s[22:23], 2
	s_lshl_b64 s[20:21], s[20:21], 2
	;; [unrolled: 1-line block ×3, first 2 shown]
	s_branch .LBB1_3
.LBB1_2:                                ;   in Loop: Header=BB1_3 Depth=1
	v_cvt_f32_f64_e32 v1, v[1:2]
	v_add_u32_e32 v0, s54, v0
	v_cmp_le_i32_e32 vcc, s29, v0
	s_or_b64 s[26:27], vcc, s[26:27]
	global_store_dword v[3:4], v1, off
	s_andn2_b64 exec, exec, s[26:27]
	s_cbranch_execz .LBB1_17
.LBB1_3:                                ; =>This Loop Header: Depth=1
                                        ;     Child Loop BB1_6 Depth 2
                                        ;       Child Loop BB1_9 Depth 3
                                        ;         Child Loop BB1_12 Depth 4
	v_sub_u32_e32 v1, 0, v0
	v_max_i32_e32 v1, v0, v1
	v_mul_hi_u32 v2, v1, v5
	v_ashrrev_i32_e32 v4, 31, v0
	v_xor_b32_e32 v4, s55, v4
	v_mul_lo_u32 v3, v2, s62
	v_add_u32_e32 v6, 1, v2
	v_sub_u32_e32 v1, v1, v3
	v_cmp_le_u32_e32 vcc, s62, v1
	v_subrev_u32_e32 v3, s62, v1
	v_cndmask_b32_e32 v2, v2, v6, vcc
	v_cndmask_b32_e32 v1, v1, v3, vcc
	v_add_u32_e32 v3, 1, v2
	v_cmp_le_u32_e32 vcc, s62, v1
	v_cndmask_b32_e32 v1, v2, v3, vcc
	v_xor_b32_e32 v1, v1, v4
	v_sub_u32_e32 v4, v1, v4
	v_mul_lo_u32 v1, v4, s30
	s_andn2_b64 vcc, exec, s[2:3]
	v_sub_u32_e32 v3, v0, v1
	s_cbranch_vccnz .LBB1_14
; %bb.4:                                ;   in Loop: Header=BB1_3 Depth=1
	v_mul_lo_u32 v6, v4, s31
	v_mul_lo_u32 v7, v3, s44
	v_mov_b32_e32 v1, 0
	v_mov_b32_e32 v2, 0
	v_subrev_u32_e32 v6, s47, v6
	v_subrev_u32_e32 v7, s48, v7
	s_mov_b32 s63, 0
	s_mov_b64 s[34:35], s[4:5]
	s_branch .LBB1_6
.LBB1_5:                                ;   in Loop: Header=BB1_6 Depth=2
	s_add_i32 s63, s63, 1
	s_add_u32 s34, s34, s22
	s_addc_u32 s35, s35, s23
	s_cmp_eq_u32 s63, s28
	s_cbranch_scc1 .LBB1_15
.LBB1_6:                                ;   Parent Loop BB1_3 Depth=1
                                        ; =>  This Loop Header: Depth=2
                                        ;       Child Loop BB1_9 Depth 3
                                        ;         Child Loop BB1_12 Depth 4
	s_andn2_b64 vcc, exec, s[6:7]
	s_cbranch_vccnz .LBB1_5
; %bb.7:                                ;   in Loop: Header=BB1_6 Depth=2
	s_mul_i32 s0, s13, s63
	s_mul_hi_u32 s1, s12, s63
	s_add_i32 s1, s1, s0
	s_mul_i32 s0, s12, s63
	s_lshl_b64 s[0:1], s[0:1], 2
	s_add_u32 s64, s33, s0
	s_addc_u32 s65, s51, s1
	s_mov_b32 s66, 0
	s_mov_b64 s[36:37], s[34:35]
	s_branch .LBB1_9
.LBB1_8:                                ;   in Loop: Header=BB1_9 Depth=3
	s_add_i32 s66, s66, 1
	s_add_u32 s36, s36, s20
	s_addc_u32 s37, s37, s21
	s_cmp_eq_u32 s66, s49
	s_cbranch_scc1 .LBB1_5
.LBB1_9:                                ;   Parent Loop BB1_3 Depth=1
                                        ;     Parent Loop BB1_6 Depth=2
                                        ; =>    This Loop Header: Depth=3
                                        ;         Child Loop BB1_12 Depth 4
	s_andn2_b64 vcc, exec, s[14:15]
	s_cbranch_vccnz .LBB1_8
; %bb.10:                               ;   in Loop: Header=BB1_9 Depth=3
	s_mul_i32 s0, s66, s45
	v_add_u32_e32 v11, s0, v6
	v_mad_u64_u32 v[8:9], s[0:1], s10, v11, 0
	v_cmp_gt_i32_e32 vcc, 0, v11
	v_mov_b32_e32 v12, s65
	v_mad_u64_u32 v[9:10], s[0:1], s11, v11, v[9:10]
	v_cmp_le_i32_e64 s[0:1], s24, v11
	s_or_b64 s[38:39], vcc, s[0:1]
	v_lshlrev_b64 v[8:9], 2, v[8:9]
	v_mov_b32_e32 v10, v7
	v_add_co_u32_e32 v8, vcc, s64, v8
	v_addc_co_u32_e32 v9, vcc, v12, v9, vcc
	s_mov_b64 s[52:53], s[36:37]
	s_mov_b32 s67, s50
	s_branch .LBB1_12
.LBB1_11:                               ;   in Loop: Header=BB1_12 Depth=4
	s_or_b64 exec, exec, s[0:1]
	s_add_i32 s67, s67, -1
	s_add_u32 s52, s52, s18
	s_addc_u32 s53, s53, s19
	s_cmp_eq_u32 s67, 0
	v_add_u32_e32 v10, s46, v10
	s_cbranch_scc1 .LBB1_8
.LBB1_12:                               ;   Parent Loop BB1_3 Depth=1
                                        ;     Parent Loop BB1_6 Depth=2
                                        ;       Parent Loop BB1_9 Depth=3
                                        ; =>      This Inner Loop Header: Depth=4
	v_cmp_gt_i32_e32 vcc, 0, v10
	v_cmp_le_i32_e64 s[0:1], s25, v10
	s_or_b64 s[0:1], vcc, s[0:1]
	s_nor_b64 s[68:69], s[38:39], s[0:1]
	s_and_saveexec_b64 s[0:1], s[68:69]
	s_cbranch_execz .LBB1_11
; %bb.13:                               ;   in Loop: Header=BB1_12 Depth=4
	v_mad_u64_u32 v[11:12], s[68:69], s8, v10, 0
	v_mad_u64_u32 v[12:13], s[68:69], s9, v10, v[12:13]
	s_load_dword s68, s[52:53], 0x0
	v_lshlrev_b64 v[11:12], 2, v[11:12]
	v_add_co_u32_e32 v11, vcc, v8, v11
	v_addc_co_u32_e32 v12, vcc, v9, v12, vcc
	global_load_dword v11, v[11:12], off
	s_waitcnt lgkmcnt(0)
	v_cvt_f64_f32_e32 v[13:14], s68
	s_waitcnt vmcnt(0)
	v_cvt_f64_f32_e32 v[11:12], v11
	v_fma_f64 v[1:2], v[11:12], v[13:14], v[1:2]
	s_branch .LBB1_11
.LBB1_14:                               ;   in Loop: Header=BB1_3 Depth=1
	v_mov_b32_e32 v1, 0
	v_mov_b32_e32 v2, 0
.LBB1_15:                               ;   in Loop: Header=BB1_3 Depth=1
	v_ashrrev_i32_e32 v6, 31, v4
	v_mul_lo_u32 v8, s59, v4
	v_mul_lo_u32 v9, s58, v6
	v_mad_u64_u32 v[6:7], s[0:1], s58, v4, 0
	v_ashrrev_i32_e32 v4, 31, v3
	v_mul_lo_u32 v10, s57, v3
	v_mul_lo_u32 v11, s56, v4
	v_mad_u64_u32 v[3:4], s[0:1], s56, v3, 0
	v_add3_u32 v7, v7, v9, v8
	v_lshlrev_b64 v[6:7], 2, v[6:7]
	v_add3_u32 v4, v4, v11, v10
	v_lshlrev_b64 v[3:4], 2, v[3:4]
	v_mov_b32_e32 v8, s61
	v_add_co_u32_e32 v6, vcc, s60, v6
	v_addc_co_u32_e32 v7, vcc, v8, v7, vcc
	v_add_co_u32_e64 v3, s[0:1], v6, v3
	s_andn2_b64 vcc, exec, s[16:17]
	v_addc_co_u32_e64 v4, s[0:1], v7, v4, s[0:1]
	s_cbranch_vccnz .LBB1_2
; %bb.16:                               ;   in Loop: Header=BB1_3 Depth=1
	global_load_dword v6, v[3:4], off
	s_waitcnt vmcnt(0)
	v_cvt_f64_f32_e32 v[6:7], v6
	v_mul_f64 v[6:7], s[42:43], v[6:7]
	v_fma_f64 v[1:2], s[40:41], v[1:2], v[6:7]
	s_branch .LBB1_2
.LBB1_17:
	s_endpgm
	.section	.rodata,"a",@progbits
	.p2align	6, 0x0
	.amdhsa_kernel naive_conv_ab_nonpacked_fwd_nchw_float_double_float
		.amdhsa_group_segment_fixed_size 0
		.amdhsa_private_segment_fixed_size 0
		.amdhsa_kernarg_size 480
		.amdhsa_user_sgpr_count 6
		.amdhsa_user_sgpr_private_segment_buffer 1
		.amdhsa_user_sgpr_dispatch_ptr 0
		.amdhsa_user_sgpr_queue_ptr 0
		.amdhsa_user_sgpr_kernarg_segment_ptr 1
		.amdhsa_user_sgpr_dispatch_id 0
		.amdhsa_user_sgpr_flat_scratch_init 0
		.amdhsa_user_sgpr_private_segment_size 0
		.amdhsa_uses_dynamic_stack 0
		.amdhsa_system_sgpr_private_segment_wavefront_offset 0
		.amdhsa_system_sgpr_workgroup_id_x 1
		.amdhsa_system_sgpr_workgroup_id_y 0
		.amdhsa_system_sgpr_workgroup_id_z 0
		.amdhsa_system_sgpr_workgroup_info 0
		.amdhsa_system_vgpr_workitem_id 0
		.amdhsa_next_free_vgpr 15
		.amdhsa_next_free_sgpr 70
		.amdhsa_reserve_vcc 1
		.amdhsa_reserve_flat_scratch 0
		.amdhsa_float_round_mode_32 0
		.amdhsa_float_round_mode_16_64 0
		.amdhsa_float_denorm_mode_32 3
		.amdhsa_float_denorm_mode_16_64 3
		.amdhsa_dx10_clamp 1
		.amdhsa_ieee_mode 1
		.amdhsa_fp16_overflow 0
		.amdhsa_exception_fp_ieee_invalid_op 0
		.amdhsa_exception_fp_denorm_src 0
		.amdhsa_exception_fp_ieee_div_zero 0
		.amdhsa_exception_fp_ieee_overflow 0
		.amdhsa_exception_fp_ieee_underflow 0
		.amdhsa_exception_fp_ieee_inexact 0
		.amdhsa_exception_int_div_zero 0
	.end_amdhsa_kernel
	.text
.Lfunc_end1:
	.size	naive_conv_ab_nonpacked_fwd_nchw_float_double_float, .Lfunc_end1-naive_conv_ab_nonpacked_fwd_nchw_float_double_float
                                        ; -- End function
	.set naive_conv_ab_nonpacked_fwd_nchw_float_double_float.num_vgpr, 15
	.set naive_conv_ab_nonpacked_fwd_nchw_float_double_float.num_agpr, 0
	.set naive_conv_ab_nonpacked_fwd_nchw_float_double_float.numbered_sgpr, 70
	.set naive_conv_ab_nonpacked_fwd_nchw_float_double_float.num_named_barrier, 0
	.set naive_conv_ab_nonpacked_fwd_nchw_float_double_float.private_seg_size, 0
	.set naive_conv_ab_nonpacked_fwd_nchw_float_double_float.uses_vcc, 1
	.set naive_conv_ab_nonpacked_fwd_nchw_float_double_float.uses_flat_scratch, 0
	.set naive_conv_ab_nonpacked_fwd_nchw_float_double_float.has_dyn_sized_stack, 0
	.set naive_conv_ab_nonpacked_fwd_nchw_float_double_float.has_recursion, 0
	.set naive_conv_ab_nonpacked_fwd_nchw_float_double_float.has_indirect_call, 0
	.section	.AMDGPU.csdata,"",@progbits
; Kernel info:
; codeLenInByte = 1468
; TotalNumSgprs: 74
; NumVgprs: 15
; ScratchSize: 0
; MemoryBound: 0
; FloatMode: 240
; IeeeMode: 1
; LDSByteSize: 0 bytes/workgroup (compile time only)
; SGPRBlocks: 9
; VGPRBlocks: 3
; NumSGPRsForWavesPerEU: 74
; NumVGPRsForWavesPerEU: 15
; Occupancy: 10
; WaveLimiterHint : 0
; COMPUTE_PGM_RSRC2:SCRATCH_EN: 0
; COMPUTE_PGM_RSRC2:USER_SGPR: 6
; COMPUTE_PGM_RSRC2:TRAP_HANDLER: 0
; COMPUTE_PGM_RSRC2:TGID_X_EN: 1
; COMPUTE_PGM_RSRC2:TGID_Y_EN: 0
; COMPUTE_PGM_RSRC2:TGID_Z_EN: 0
; COMPUTE_PGM_RSRC2:TIDIG_COMP_CNT: 0
	.text
	.protected	naive_conv_ab_packed_fwd_nchw_half_double_half ; -- Begin function naive_conv_ab_packed_fwd_nchw_half_double_half
	.globl	naive_conv_ab_packed_fwd_nchw_half_double_half
	.p2align	8
	.type	naive_conv_ab_packed_fwd_nchw_half_double_half,@function
naive_conv_ab_packed_fwd_nchw_half_double_half: ; @naive_conv_ab_packed_fwd_nchw_half_double_half
; %bb.0:
	s_load_dwordx16 s[8:23], s[4:5], 0xa0
	s_abs_i32 s2, s6
	s_waitcnt lgkmcnt(0)
	s_abs_i32 s0, s11
	v_cvt_f32_u32_e32 v1, s0
	s_sub_i32 s1, 0, s0
	s_mul_i32 s34, s11, s10
	s_mul_i32 s33, s14, s13
	v_rcp_iflag_f32_e32 v1, v1
	v_cmp_gt_i32_e32 vcc, s33, v0
	v_mul_f32_e32 v1, 0x4f7ffffe, v1
	v_cvt_u32_f32_e32 v1, v1
	v_readfirstlane_b32 s3, v1
	s_mul_i32 s1, s1, s3
	s_mul_hi_u32 s1, s3, s1
	s_add_i32 s3, s3, s1
	s_mul_hi_u32 s1, s2, s3
	s_mul_i32 s3, s1, s0
	s_sub_i32 s3, s2, s3
	s_add_i32 s7, s1, 1
	s_sub_i32 s24, s3, s0
	s_cmp_ge_u32 s3, s0
	s_cselect_b32 s1, s7, s1
	s_cselect_b32 s3, s24, s3
	s_add_i32 s7, s1, 1
	s_cmp_ge_u32 s3, s0
	s_cselect_b32 s35, s7, s1
	s_abs_i32 s7, s10
	s_abs_i32 s3, s34
	v_cvt_f32_u32_e32 v1, s7
	v_cvt_f32_u32_e32 v2, s3
	v_rcp_iflag_f32_e32 v1, v1
	v_rcp_iflag_f32_e32 v2, v2
	v_mul_f32_e32 v1, 0x4f7ffffe, v1
	v_mul_f32_e32 v2, 0x4f7ffffe, v2
	v_cvt_u32_f32_e32 v1, v1
	v_cvt_u32_f32_e32 v2, v2
	v_readfirstlane_b32 s36, v1
	v_readfirstlane_b32 s10, v2
	s_and_saveexec_b64 s[0:1], vcc
	s_cbranch_execz .LBB2_19
; %bb.1:
	s_ashr_i32 s37, s6, 31
	s_ashr_i32 s38, s11, 31
	s_xor_b32 s38, s37, s38
	s_sub_i32 s40, 0, s7
	s_xor_b32 s35, s35, s38
	s_mul_i32 s40, s40, s36
	s_sub_i32 s35, s35, s38
	s_mul_hi_u32 s40, s36, s40
	s_abs_i32 s39, s35
	s_add_i32 s36, s36, s40
	s_mul_hi_u32 s36, s39, s36
	s_sub_i32 s40, 0, s3
	s_ashr_i32 s38, s35, 31
	s_mul_i32 s40, s40, s10
	s_mul_i32 s35, s35, s11
	;; [unrolled: 1-line block ×3, first 2 shown]
	s_mul_hi_u32 s40, s10, s40
	s_sub_i32 s6, s6, s35
	s_sub_i32 s35, s39, s36
	s_ashr_i32 s34, s34, 31
	s_add_i32 s10, s10, s40
	s_sub_i32 s36, s35, s7
	s_cmp_ge_u32 s35, s7
	s_cselect_b32 s35, s36, s35
	s_sub_i32 s36, s35, s7
	s_mul_hi_u32 s10, s2, s10
	s_cmp_ge_u32 s35, s7
	s_cselect_b32 s7, s36, s35
	s_mul_i32 s35, s10, s3
	s_xor_b32 s7, s7, s38
	s_sub_i32 s2, s2, s35
	s_sub_i32 s7, s7, s38
	s_xor_b32 s34, s37, s34
	s_add_i32 s35, s10, 1
	s_sub_i32 s36, s2, s3
	s_cmp_ge_u32 s2, s3
	s_cselect_b32 s10, s35, s10
	s_cselect_b32 s2, s36, s2
	s_add_i32 s35, s10, 1
	s_cmp_ge_u32 s2, s3
	s_cselect_b32 s2, s35, s10
	s_xor_b32 s2, s2, s34
	s_mul_i32 s40, s23, s11
	s_mul_i32 s23, s23, s12
	s_sub_i32 s10, s2, s34
	s_mul_i32 s3, s7, s23
	s_ashr_i32 s44, s8, 31
	s_ashr_i32 s45, s9, 31
	;; [unrolled: 1-line block ×3, first 2 shown]
	s_mul_i32 s35, s10, s12
	s_mul_hi_i32 s2, s7, s23
	s_mul_hi_i32 s23, s10, s12
	s_add_u32 s35, s35, s3
	s_addc_u32 s2, s23, s2
	s_mul_i32 s23, s9, s8
	s_load_dwordx8 s[24:31], s[4:5], 0x0
	s_load_dwordx2 s[0:1], s[4:5], 0x20
	s_mul_hi_i32 s3, s9, s8
	s_mul_i32 s2, s23, s2
	s_mul_hi_u32 s36, s23, s35
	s_add_i32 s2, s36, s2
	s_mul_i32 s3, s3, s35
	s_add_i32 s3, s2, s3
	s_mul_i32 s2, s23, s35
	s_lshl_b64 s[2:3], s[2:3], 1
	s_waitcnt lgkmcnt(0)
	s_add_u32 s46, s24, s2
	s_addc_u32 s47, s25, s3
	s_mul_hi_i32 s2, s10, s11
	s_mul_i32 s10, s10, s11
	s_ashr_i32 s23, s22, 31
	s_ashr_i32 s3, s6, 31
	s_add_u32 s24, s10, s6
	s_addc_u32 s25, s2, s3
	s_mul_hi_i32 s2, s7, s40
	s_mul_i32 s7, s7, s40
	s_ashr_i32 s48, s14, 31
	s_add_u32 s6, s24, s7
	s_addc_u32 s2, s25, s2
	s_mul_hi_i32 s3, s14, s13
	s_mul_i32 s2, s33, s2
	s_mul_hi_u32 s7, s33, s6
	s_add_i32 s2, s7, s2
	s_mul_i32 s3, s3, s6
	s_add_i32 s3, s2, s3
	s_mul_i32 s2, s33, s6
	s_lshl_b64 s[2:3], s[2:3], 1
	s_add_u32 s13, s0, s2
	s_addc_u32 s49, s1, s3
	s_cmp_gt_i32 s12, 0
	s_cselect_b64 s[2:3], -1, 0
	s_cmp_gt_i32 s21, 0
	s_load_dword s35, s[4:5], 0xec
	s_cselect_b64 s[4:5], -1, 0
	s_cmp_gt_i32 s22, 0
	s_cselect_b64 s[6:7], -1, 0
	s_abs_i32 s50, s14
	v_cvt_f32_u32_e32 v1, s50
	v_cmp_neq_f64_e64 s[0:1], s[28:29], 1.0
	v_cmp_neq_f64_e64 s[10:11], s[30:31], 0
	s_sub_i32 s36, 0, s50
	v_rcp_iflag_f32_e32 v1, v1
	s_mov_b32 s53, s21
	s_waitcnt lgkmcnt(0)
	s_and_b32 s54, s35, 0xffff
	s_mov_b32 s51, s8
	v_mul_f32_e32 v1, 0x4f7ffffe, v1
	v_cvt_u32_f32_e32 v1, v1
	s_or_b64 s[10:11], s[0:1], s[10:11]
	s_mul_i32 s0, s22, s21
	s_mul_i32 s1, s0, s25
	v_mul_lo_u32 v2, s36, v1
	s_mul_hi_u32 s25, s0, s24
	s_add_i32 s25, s25, s1
	s_mul_hi_i32 s1, s22, s21
	s_mul_i32 s21, s1, s24
	s_mul_i32 s24, s0, s24
	s_add_i32 s21, s25, s21
	s_mul_i32 s25, s24, s34
	s_mul_hi_u32 s34, s24, s12
	v_mul_hi_u32 v2, v1, v2
	s_add_i32 s25, s34, s25
	s_mul_i32 s21, s21, s12
	s_add_i32 s25, s25, s21
	s_mul_i32 s24, s24, s12
	s_lshl_b64 s[24:25], s[24:25], 1
	s_add_u32 s24, s26, s24
	s_mov_b32 s52, s9
	s_mov_b64 s[8:9], 0
	v_add_u32_e32 v7, v1, v2
	v_mov_b32_e32 v2, 0
	s_addc_u32 s25, s27, s25
	s_lshl_b64 s[26:27], s[0:1], 1
	s_lshl_b64 s[34:35], s[22:23], 1
	s_movk_i32 s21, 0x1ff
	s_movk_i32 s23, 0xffe
	;; [unrolled: 1-line block ×3, first 2 shown]
	s_mov_b32 s56, 0x8000
	v_mov_b32_e32 v8, 0x7c00
	v_mov_b32_e32 v9, 0x7e00
	s_branch .LBB2_3
.LBB2_2:                                ;   in Loop: Header=BB2_3 Depth=1
	v_add_u32_e32 v0, s54, v0
	v_cmp_le_i32_e32 vcc, s33, v0
	s_or_b64 s[8:9], vcc, s[8:9]
	s_andn2_b64 exec, exec, s[8:9]
	s_cbranch_execz .LBB2_19
.LBB2_3:                                ; =>This Loop Header: Depth=1
                                        ;     Child Loop BB2_6 Depth 2
                                        ;       Child Loop BB2_9 Depth 3
                                        ;         Child Loop BB2_12 Depth 4
	v_sub_u32_e32 v1, 0, v0
	v_max_i32_e32 v1, v0, v1
	v_mul_hi_u32 v3, v1, v7
	v_ashrrev_i32_e32 v5, 31, v0
	v_xor_b32_e32 v5, s48, v5
	v_mul_lo_u32 v4, v3, s50
	v_add_u32_e32 v6, 1, v3
	v_sub_u32_e32 v1, v1, v4
	v_cmp_le_u32_e32 vcc, s50, v1
	v_subrev_u32_e32 v4, s50, v1
	v_cndmask_b32_e32 v3, v3, v6, vcc
	v_cndmask_b32_e32 v1, v1, v4, vcc
	v_add_u32_e32 v4, 1, v3
	v_cmp_le_u32_e32 vcc, s50, v1
	v_cndmask_b32_e32 v1, v3, v4, vcc
	v_xor_b32_e32 v1, v1, v5
	v_sub_u32_e32 v10, v1, v5
	v_mul_lo_u32 v1, v10, s14
	s_andn2_b64 vcc, exec, s[2:3]
	v_sub_u32_e32 v5, v0, v1
	s_cbranch_vccnz .LBB2_14
; %bb.4:                                ;   in Loop: Header=BB2_3 Depth=1
	v_mul_lo_u32 v1, v10, s15
	v_mul_lo_u32 v11, v5, s16
	v_mov_b32_e32 v3, 0
	v_mov_b32_e32 v4, 0
	v_subrev_u32_e32 v6, s19, v1
	v_subrev_u32_e32 v11, s20, v11
	s_mov_b32 s57, 0
	s_mov_b64 s[36:37], s[24:25]
	s_branch .LBB2_6
.LBB2_5:                                ;   in Loop: Header=BB2_6 Depth=2
	s_add_i32 s57, s57, 1
	s_add_u32 s36, s36, s26
	s_addc_u32 s37, s37, s27
	s_cmp_eq_u32 s57, s12
	s_cbranch_scc1 .LBB2_15
.LBB2_6:                                ;   Parent Loop BB2_3 Depth=1
                                        ; =>  This Loop Header: Depth=2
                                        ;       Child Loop BB2_9 Depth 3
                                        ;         Child Loop BB2_12 Depth 4
	s_andn2_b64 vcc, exec, s[4:5]
	s_cbranch_vccnz .LBB2_5
; %bb.7:                                ;   in Loop: Header=BB2_6 Depth=2
	s_mul_i32 s0, s57, s44
	s_mul_hi_u32 s1, s57, s51
	s_add_i32 s58, s1, s0
	s_mul_i32 s59, s57, s51
	s_mov_b32 s60, 0
	s_mov_b64 s[38:39], s[36:37]
	s_branch .LBB2_9
.LBB2_8:                                ;   in Loop: Header=BB2_9 Depth=3
	s_add_i32 s60, s60, 1
	s_add_u32 s38, s38, s34
	s_addc_u32 s39, s39, s35
	s_cmp_eq_u32 s60, s53
	s_cbranch_scc1 .LBB2_5
.LBB2_9:                                ;   Parent Loop BB2_3 Depth=1
                                        ;     Parent Loop BB2_6 Depth=2
                                        ; =>    This Loop Header: Depth=3
                                        ;         Child Loop BB2_12 Depth 4
	s_andn2_b64 vcc, exec, s[6:7]
	s_cbranch_vccnz .LBB2_8
; %bb.10:                               ;   in Loop: Header=BB2_9 Depth=3
	s_mul_i32 s0, s60, s17
	v_add_u32_e32 v1, s0, v6
	v_mov_b32_e32 v12, s58
	v_add_co_u32_e32 v13, vcc, s59, v1
	v_addc_co_u32_e32 v12, vcc, 0, v12, vcc
	v_mul_lo_u32 v14, v12, s52
	v_mul_lo_u32 v15, v13, s45
	v_mad_u64_u32 v[12:13], s[0:1], v13, s52, 0
	v_cmp_gt_i32_e32 vcc, 0, v1
	v_cmp_le_i32_e64 s[0:1], s51, v1
	v_add3_u32 v13, v13, v15, v14
	v_lshlrev_b64 v[12:13], 1, v[12:13]
	s_or_b64 s[40:41], vcc, s[0:1]
	v_mov_b32_e32 v1, s47
	v_add_co_u32_e32 v12, vcc, s46, v12
	v_addc_co_u32_e32 v13, vcc, v1, v13, vcc
	v_mov_b32_e32 v1, v11
	s_mov_b64 s[42:43], s[38:39]
	s_mov_b32 s61, s22
	s_branch .LBB2_12
.LBB2_11:                               ;   in Loop: Header=BB2_12 Depth=4
	s_or_b64 exec, exec, s[0:1]
	s_add_i32 s61, s61, -1
	s_add_u32 s42, s42, 2
	s_addc_u32 s43, s43, 0
	s_cmp_eq_u32 s61, 0
	v_add_u32_e32 v1, s18, v1
	s_cbranch_scc1 .LBB2_8
.LBB2_12:                               ;   Parent Loop BB2_3 Depth=1
                                        ;     Parent Loop BB2_6 Depth=2
                                        ;       Parent Loop BB2_9 Depth=3
                                        ; =>      This Inner Loop Header: Depth=4
	v_cmp_gt_i32_e32 vcc, 0, v1
	v_cmp_le_i32_e64 s[0:1], s52, v1
	s_or_b64 s[0:1], vcc, s[0:1]
	s_nor_b64 s[62:63], s[40:41], s[0:1]
	s_and_saveexec_b64 s[0:1], s[62:63]
	s_cbranch_execz .LBB2_11
; %bb.13:                               ;   in Loop: Header=BB2_12 Depth=4
	v_lshlrev_b64 v[14:15], 1, v[1:2]
	v_add_co_u32_e32 v14, vcc, v12, v14
	v_addc_co_u32_e32 v15, vcc, v13, v15, vcc
	global_load_ushort v14, v[14:15], off
	s_nop 0
	global_load_ushort v15, v2, s[42:43]
	s_waitcnt vmcnt(1)
	v_cvt_f32_f16_e32 v14, v14
	s_waitcnt vmcnt(0)
	v_cvt_f32_f16_e32 v16, v15
	v_cvt_f64_f32_e32 v[14:15], v14
	v_cvt_f64_f32_e32 v[16:17], v16
	v_fma_f64 v[3:4], v[14:15], v[16:17], v[3:4]
	s_branch .LBB2_11
.LBB2_14:                               ;   in Loop: Header=BB2_3 Depth=1
	v_mov_b32_e32 v3, 0
	v_mov_b32_e32 v4, 0
.LBB2_15:                               ;   in Loop: Header=BB2_3 Depth=1
	v_ashrrev_i32_e32 v6, 31, v5
	v_mad_i64_i32 v[5:6], s[0:1], v10, s14, v[5:6]
	s_mov_b64 s[0:1], -1
	s_and_b64 vcc, exec, s[10:11]
	s_cbranch_vccz .LBB2_17
; %bb.16:                               ;   in Loop: Header=BB2_3 Depth=1
	v_lshlrev_b64 v[10:11], 1, v[5:6]
	v_mov_b32_e32 v1, s49
	v_add_co_u32_e32 v10, vcc, s13, v10
	v_addc_co_u32_e32 v11, vcc, v1, v11, vcc
	global_load_ushort v1, v[10:11], off
	s_mov_b64 s[0:1], 0
	s_waitcnt vmcnt(0)
	v_cvt_f32_f16_e32 v1, v1
	v_cvt_f64_f32_e32 v[12:13], v1
	v_mul_f64 v[12:13], s[30:31], v[12:13]
	v_fma_f64 v[12:13], s[28:29], v[3:4], v[12:13]
	v_and_or_b32 v1, v13, s21, v12
	v_cmp_ne_u32_e32 vcc, 0, v1
	v_lshrrev_b32_e32 v12, 8, v13
	v_bfe_u32 v14, v13, 20, 11
	v_cndmask_b32_e64 v1, 0, 1, vcc
	v_sub_u32_e32 v15, 0x3f1, v14
	v_and_or_b32 v1, v12, s23, v1
	v_med3_i32 v12, v15, 0, 13
	v_or_b32_e32 v15, 0x1000, v1
	v_lshrrev_b32_e32 v17, v12, v15
	v_add_u32_e32 v14, 0xfffffc10, v14
	v_cmp_ne_u32_e32 vcc, 0, v1
	v_lshlrev_b32_e32 v12, v12, v17
	v_lshl_or_b32 v16, v14, 12, v1
	v_cndmask_b32_e32 v1, v8, v9, vcc
	v_cmp_ne_u32_e32 vcc, v12, v15
	v_cndmask_b32_e64 v12, 0, 1, vcc
	v_or_b32_e32 v12, v17, v12
	v_cmp_gt_i32_e32 vcc, 1, v14
	v_cndmask_b32_e32 v12, v16, v12, vcc
	v_and_b32_e32 v15, 7, v12
	v_cmp_lt_i32_e32 vcc, 5, v15
	v_cndmask_b32_e64 v16, 0, 1, vcc
	v_cmp_eq_u32_e32 vcc, 3, v15
	v_cndmask_b32_e64 v15, 0, 1, vcc
	v_lshrrev_b32_e32 v12, 2, v12
	v_or_b32_e32 v15, v15, v16
	v_add_u32_e32 v12, v12, v15
	v_cmp_gt_i32_e32 vcc, 31, v14
	v_cndmask_b32_e32 v12, v8, v12, vcc
	v_cmp_eq_u32_e32 vcc, s55, v14
	v_lshrrev_b32_e32 v13, 16, v13
	v_cndmask_b32_e32 v1, v12, v1, vcc
	v_and_or_b32 v1, v13, s56, v1
	global_store_short v[10:11], v1, off
.LBB2_17:                               ;   in Loop: Header=BB2_3 Depth=1
	s_andn2_b64 vcc, exec, s[0:1]
	s_cbranch_vccnz .LBB2_2
; %bb.18:                               ;   in Loop: Header=BB2_3 Depth=1
	v_and_or_b32 v1, v4, s21, v3
	v_cmp_ne_u32_e32 vcc, 0, v1
	v_cndmask_b32_e64 v1, 0, 1, vcc
	v_lshrrev_b32_e32 v3, 8, v4
	v_bfe_u32 v10, v4, 20, 11
	v_and_or_b32 v1, v3, s23, v1
	v_sub_u32_e32 v11, 0x3f1, v10
	v_or_b32_e32 v3, 0x1000, v1
	v_med3_i32 v11, v11, 0, 13
	v_lshrrev_b32_e32 v12, v11, v3
	v_lshlrev_b32_e32 v11, v11, v12
	v_cmp_ne_u32_e32 vcc, v11, v3
	v_cndmask_b32_e64 v3, 0, 1, vcc
	v_add_u32_e32 v10, 0xfffffc10, v10
	v_or_b32_e32 v3, v12, v3
	v_lshl_or_b32 v11, v10, 12, v1
	v_cmp_gt_i32_e32 vcc, 1, v10
	v_cndmask_b32_e32 v3, v11, v3, vcc
	v_and_b32_e32 v11, 7, v3
	v_cmp_lt_i32_e32 vcc, 5, v11
	v_cndmask_b32_e64 v12, 0, 1, vcc
	v_cmp_eq_u32_e32 vcc, 3, v11
	v_cndmask_b32_e64 v11, 0, 1, vcc
	v_or_b32_e32 v11, v11, v12
	v_lshrrev_b32_e32 v3, 2, v3
	v_add_u32_e32 v3, v3, v11
	v_cmp_gt_i32_e32 vcc, 31, v10
	v_cndmask_b32_e32 v3, v8, v3, vcc
	v_cmp_ne_u32_e32 vcc, 0, v1
	v_cndmask_b32_e32 v1, v8, v9, vcc
	v_cmp_eq_u32_e32 vcc, s55, v10
	v_cndmask_b32_e32 v1, v3, v1, vcc
	v_lshrrev_b32_e32 v3, 16, v4
	v_and_or_b32 v1, v3, s56, v1
	v_lshlrev_b64 v[3:4], 1, v[5:6]
	v_mov_b32_e32 v5, s49
	v_add_co_u32_e32 v3, vcc, s13, v3
	v_addc_co_u32_e32 v4, vcc, v5, v4, vcc
	global_store_short v[3:4], v1, off
	s_branch .LBB2_2
.LBB2_19:
	s_endpgm
	.section	.rodata,"a",@progbits
	.p2align	6, 0x0
	.amdhsa_kernel naive_conv_ab_packed_fwd_nchw_half_double_half
		.amdhsa_group_segment_fixed_size 0
		.amdhsa_private_segment_fixed_size 0
		.amdhsa_kernarg_size 480
		.amdhsa_user_sgpr_count 6
		.amdhsa_user_sgpr_private_segment_buffer 1
		.amdhsa_user_sgpr_dispatch_ptr 0
		.amdhsa_user_sgpr_queue_ptr 0
		.amdhsa_user_sgpr_kernarg_segment_ptr 1
		.amdhsa_user_sgpr_dispatch_id 0
		.amdhsa_user_sgpr_flat_scratch_init 0
		.amdhsa_user_sgpr_private_segment_size 0
		.amdhsa_uses_dynamic_stack 0
		.amdhsa_system_sgpr_private_segment_wavefront_offset 0
		.amdhsa_system_sgpr_workgroup_id_x 1
		.amdhsa_system_sgpr_workgroup_id_y 0
		.amdhsa_system_sgpr_workgroup_id_z 0
		.amdhsa_system_sgpr_workgroup_info 0
		.amdhsa_system_vgpr_workitem_id 0
		.amdhsa_next_free_vgpr 18
		.amdhsa_next_free_sgpr 64
		.amdhsa_reserve_vcc 1
		.amdhsa_reserve_flat_scratch 0
		.amdhsa_float_round_mode_32 0
		.amdhsa_float_round_mode_16_64 0
		.amdhsa_float_denorm_mode_32 3
		.amdhsa_float_denorm_mode_16_64 3
		.amdhsa_dx10_clamp 1
		.amdhsa_ieee_mode 1
		.amdhsa_fp16_overflow 0
		.amdhsa_exception_fp_ieee_invalid_op 0
		.amdhsa_exception_fp_denorm_src 0
		.amdhsa_exception_fp_ieee_div_zero 0
		.amdhsa_exception_fp_ieee_overflow 0
		.amdhsa_exception_fp_ieee_underflow 0
		.amdhsa_exception_fp_ieee_inexact 0
		.amdhsa_exception_int_div_zero 0
	.end_amdhsa_kernel
	.text
.Lfunc_end2:
	.size	naive_conv_ab_packed_fwd_nchw_half_double_half, .Lfunc_end2-naive_conv_ab_packed_fwd_nchw_half_double_half
                                        ; -- End function
	.set naive_conv_ab_packed_fwd_nchw_half_double_half.num_vgpr, 18
	.set naive_conv_ab_packed_fwd_nchw_half_double_half.num_agpr, 0
	.set naive_conv_ab_packed_fwd_nchw_half_double_half.numbered_sgpr, 64
	.set naive_conv_ab_packed_fwd_nchw_half_double_half.num_named_barrier, 0
	.set naive_conv_ab_packed_fwd_nchw_half_double_half.private_seg_size, 0
	.set naive_conv_ab_packed_fwd_nchw_half_double_half.uses_vcc, 1
	.set naive_conv_ab_packed_fwd_nchw_half_double_half.uses_flat_scratch, 0
	.set naive_conv_ab_packed_fwd_nchw_half_double_half.has_dyn_sized_stack, 0
	.set naive_conv_ab_packed_fwd_nchw_half_double_half.has_recursion, 0
	.set naive_conv_ab_packed_fwd_nchw_half_double_half.has_indirect_call, 0
	.section	.AMDGPU.csdata,"",@progbits
; Kernel info:
; codeLenInByte = 1788
; TotalNumSgprs: 68
; NumVgprs: 18
; ScratchSize: 0
; MemoryBound: 0
; FloatMode: 240
; IeeeMode: 1
; LDSByteSize: 0 bytes/workgroup (compile time only)
; SGPRBlocks: 8
; VGPRBlocks: 4
; NumSGPRsForWavesPerEU: 68
; NumVGPRsForWavesPerEU: 18
; Occupancy: 10
; WaveLimiterHint : 0
; COMPUTE_PGM_RSRC2:SCRATCH_EN: 0
; COMPUTE_PGM_RSRC2:USER_SGPR: 6
; COMPUTE_PGM_RSRC2:TRAP_HANDLER: 0
; COMPUTE_PGM_RSRC2:TGID_X_EN: 1
; COMPUTE_PGM_RSRC2:TGID_Y_EN: 0
; COMPUTE_PGM_RSRC2:TGID_Z_EN: 0
; COMPUTE_PGM_RSRC2:TIDIG_COMP_CNT: 0
	.text
	.protected	naive_conv_ab_nonpacked_fwd_nchw_half_double_half ; -- Begin function naive_conv_ab_nonpacked_fwd_nchw_half_double_half
	.globl	naive_conv_ab_nonpacked_fwd_nchw_half_double_half
	.p2align	8
	.type	naive_conv_ab_nonpacked_fwd_nchw_half_double_half,@function
naive_conv_ab_nonpacked_fwd_nchw_half_double_half: ; @naive_conv_ab_nonpacked_fwd_nchw_half_double_half
; %bb.0:
	s_load_dwordx8 s[24:31], s[4:5], 0xa0
	s_abs_i32 s7, s6
	s_waitcnt lgkmcnt(0)
	s_abs_i32 s1, s27
	v_cvt_f32_u32_e32 v1, s1
	s_sub_i32 s2, 0, s1
	s_mul_i32 s0, s27, s26
	s_mul_i32 s29, s30, s29
	v_rcp_iflag_f32_e32 v1, v1
	v_cmp_gt_i32_e32 vcc, s29, v0
	v_mul_f32_e32 v1, 0x4f7ffffe, v1
	v_cvt_u32_f32_e32 v1, v1
	v_readfirstlane_b32 s3, v1
	s_mul_i32 s2, s2, s3
	s_mul_hi_u32 s2, s3, s2
	s_add_i32 s3, s3, s2
	s_mul_hi_u32 s2, s7, s3
	s_mul_i32 s3, s2, s1
	s_sub_i32 s3, s7, s3
	s_add_i32 s8, s2, 1
	s_sub_i32 s9, s3, s1
	s_cmp_ge_u32 s3, s1
	s_cselect_b32 s2, s8, s2
	s_cselect_b32 s3, s9, s3
	s_add_i32 s8, s2, 1
	s_cmp_ge_u32 s3, s1
	s_cselect_b32 s1, s8, s2
	s_abs_i32 s33, s26
	s_abs_i32 s26, s0
	v_cvt_f32_u32_e32 v1, s33
	v_cvt_f32_u32_e32 v2, s26
	v_rcp_iflag_f32_e32 v1, v1
	v_rcp_iflag_f32_e32 v2, v2
	v_mul_f32_e32 v1, 0x4f7ffffe, v1
	v_mul_f32_e32 v2, 0x4f7ffffe, v2
	v_cvt_u32_f32_e32 v1, v1
	v_cvt_u32_f32_e32 v2, v2
	v_readfirstlane_b32 s3, v1
	v_readfirstlane_b32 s2, v2
	s_and_saveexec_b64 s[8:9], vcc
	s_cbranch_execz .LBB3_19
; %bb.1:
	s_load_dwordx8 s[36:43], s[4:5], 0x0
	s_load_dwordx2 s[34:35], s[4:5], 0x20
	s_load_dwordx8 s[44:51], s[4:5], 0xc0
	s_waitcnt lgkmcnt(0)
	s_ashr_i32 s51, s6, 31
	s_ashr_i32 s8, s27, 31
	s_xor_b32 s8, s51, s8
	s_xor_b32 s1, s1, s8
	s_sub_i32 s1, s1, s8
	s_sub_i32 s8, 0, s33
	s_mul_i32 s8, s8, s3
	s_mul_hi_u32 s8, s3, s8
	s_abs_i32 s55, s1
	s_add_i32 s3, s3, s8
	s_mul_hi_u32 s56, s55, s3
	s_ashr_i32 s57, s0, 31
	s_sub_i32 s0, 0, s26
	s_ashr_i32 s54, s1, 31
	s_mul_i32 s0, s0, s2
	s_mul_i32 s1, s1, s27
	s_mul_i32 s56, s56, s33
	s_mul_hi_u32 s0, s2, s0
	s_sub_i32 s62, s6, s1
	s_sub_i32 s6, s55, s56
	s_add_i32 s2, s2, s0
	s_sub_i32 s27, s6, s33
	s_cmp_ge_u32 s6, s33
	s_cselect_b32 s6, s27, s6
	s_sub_i32 s27, s6, s33
	s_mul_hi_u32 s58, s7, s2
	s_cmp_ge_u32 s6, s33
	s_cselect_b32 s6, s27, s6
	s_mul_i32 s33, s58, s26
	s_xor_b32 s6, s6, s54
	s_sub_i32 s7, s7, s33
	s_sub_i32 s27, s6, s54
	s_xor_b32 s6, s51, s57
	s_add_i32 s33, s58, 1
	s_sub_i32 s51, s7, s26
	s_cmp_ge_u32 s7, s26
	s_load_dwordx16 s[8:23], s[4:5], 0x28
	s_cselect_b32 s33, s33, s58
	s_cselect_b32 s7, s51, s7
	s_add_i32 s51, s33, 1
	s_cmp_ge_u32 s7, s26
	s_cselect_b32 s7, s51, s33
	s_xor_b32 s7, s7, s6
	s_ashr_i32 s26, s27, 31
	s_sub_i32 s63, s7, s6
	s_waitcnt lgkmcnt(0)
	s_mul_i32 s6, s16, s26
	s_mul_hi_u32 s7, s16, s27
	s_add_i32 s6, s7, s6
	s_mul_i32 s7, s17, s27
	s_ashr_i32 s64, s63, 31
	s_load_dwordx2 s[52:53], s[4:5], 0x98
	s_load_dwordx4 s[0:3], s[4:5], 0x88
	s_add_i32 s7, s6, s7
	s_mul_i32 s6, s16, s27
	s_mul_i32 s16, s14, s64
	s_mul_hi_u32 s17, s14, s63
	s_add_i32 s16, s17, s16
	s_mul_i32 s15, s15, s63
	s_add_i32 s15, s16, s15
	s_lshl_b64 s[6:7], s[6:7], 1
	s_mul_i32 s14, s14, s63
	s_add_u32 s16, s36, s6
	s_addc_u32 s17, s37, s7
	s_lshl_b64 s[6:7], s[14:15], 1
	s_add_u32 s33, s16, s6
	s_waitcnt lgkmcnt(0)
	s_mul_i32 s14, s2, s64
	s_mul_hi_u32 s15, s2, s63
	s_addc_u32 s51, s17, s7
	s_ashr_i32 s36, s62, 31
	s_mul_i32 s6, s52, s26
	s_mul_hi_u32 s7, s52, s27
	s_add_i32 s14, s15, s14
	s_mul_i32 s3, s3, s63
	s_add_i32 s6, s7, s6
	s_mul_i32 s7, s53, s27
	;; [unrolled: 2-line block ×3, first 2 shown]
	s_mul_hi_u32 s15, s0, s62
	s_add_i32 s7, s6, s7
	s_mul_i32 s6, s52, s27
	s_add_i32 s14, s15, s14
	s_mul_i32 s1, s1, s62
	s_add_i32 s1, s14, s1
	s_lshl_b64 s[6:7], s[6:7], 1
	s_mul_i32 s2, s2, s63
	s_add_u32 s6, s34, s6
	s_addc_u32 s7, s35, s7
	s_lshl_b64 s[2:3], s[2:3], 1
	v_cmp_neq_f64_e64 s[16:17], s[40:41], 1.0
	v_cmp_neq_f64_e64 s[26:27], s[42:43], 0
	s_mul_i32 s0, s0, s62
	s_add_u32 s2, s6, s2
	s_addc_u32 s3, s7, s3
	s_lshl_b64 s[0:1], s[0:1], 1
	s_add_u32 s60, s2, s0
	s_addc_u32 s61, s3, s1
	s_cmp_gt_i32 s28, 0
	s_cselect_b64 s[2:3], -1, 0
	s_cmp_gt_i32 s49, 0
	s_cselect_b64 s[6:7], -1, 0
	;; [unrolled: 2-line block ×3, first 2 shown]
	s_or_b64 s[16:17], s[16:17], s[26:27]
	s_load_dword s26, s[4:5], 0xec
	s_load_dwordx8 s[52:59], s[4:5], 0x68
	v_mov_b32_e32 v6, 0
	v_mov_b32_e32 v7, 0x7c00
	;; [unrolled: 1-line block ×3, first 2 shown]
	s_movk_i32 s65, 0x40f
	s_waitcnt lgkmcnt(0)
	s_mul_i32 s0, s52, s36
	s_mul_hi_u32 s1, s52, s62
	s_add_i32 s0, s1, s0
	s_mul_i32 s1, s53, s62
	s_add_i32 s1, s0, s1
	s_mul_i32 s0, s52, s62
	s_abs_i32 s62, s30
	v_cvt_f32_u32_e32 v1, s62
	s_mul_i32 s4, s54, s64
	s_mul_hi_u32 s5, s54, s63
	s_add_i32 s4, s5, s4
	v_rcp_iflag_f32_e32 v1, v1
	s_mul_i32 s5, s55, s63
	s_add_i32 s5, s4, s5
	s_mul_i32 s4, s54, s63
	v_mul_f32_e32 v1, 0x4f7ffffe, v1
	v_cvt_u32_f32_e32 v1, v1
	s_and_b32 s54, s26, 0xffff
	s_sub_i32 s26, 0, s62
	s_lshl_b64 s[0:1], s[0:1], 1
	v_mul_lo_u32 v2, s26, v1
	s_lshl_b64 s[4:5], s[4:5], 1
	s_ashr_i32 s55, s30, 31
	s_add_u32 s0, s0, s4
	v_mul_hi_u32 v2, v1, v2
	s_addc_u32 s1, s1, s5
	s_add_u32 s4, s38, s0
	s_addc_u32 s5, s39, s1
	v_add_u32_e32 v5, v1, v2
	s_movk_i32 s63, 0x1ff
	s_movk_i32 s64, 0xffe
	s_mov_b32 s66, 0x8000
	s_mov_b64 s[26:27], 0
	s_lshl_b64 s[22:23], s[22:23], 1
	s_lshl_b64 s[20:21], s[20:21], 1
	s_lshl_b64 s[18:19], s[18:19], 1
	s_branch .LBB3_3
.LBB3_2:                                ;   in Loop: Header=BB3_3 Depth=1
	v_add_u32_e32 v0, s54, v0
	v_cmp_le_i32_e32 vcc, s29, v0
	s_or_b64 s[26:27], vcc, s[26:27]
	s_andn2_b64 exec, exec, s[26:27]
	s_cbranch_execz .LBB3_19
.LBB3_3:                                ; =>This Loop Header: Depth=1
                                        ;     Child Loop BB3_6 Depth 2
                                        ;       Child Loop BB3_9 Depth 3
                                        ;         Child Loop BB3_12 Depth 4
	v_sub_u32_e32 v1, 0, v0
	v_max_i32_e32 v1, v0, v1
	v_mul_hi_u32 v2, v1, v5
	v_ashrrev_i32_e32 v4, 31, v0
	v_xor_b32_e32 v4, s55, v4
	v_mul_lo_u32 v3, v2, s62
	v_add_u32_e32 v9, 1, v2
	v_sub_u32_e32 v1, v1, v3
	v_cmp_le_u32_e32 vcc, s62, v1
	v_subrev_u32_e32 v3, s62, v1
	v_cndmask_b32_e32 v2, v2, v9, vcc
	v_cndmask_b32_e32 v1, v1, v3, vcc
	v_add_u32_e32 v3, 1, v2
	v_cmp_le_u32_e32 vcc, s62, v1
	v_cndmask_b32_e32 v1, v2, v3, vcc
	v_xor_b32_e32 v1, v1, v4
	v_sub_u32_e32 v3, v1, v4
	v_mul_lo_u32 v1, v3, s30
	s_andn2_b64 vcc, exec, s[2:3]
	v_sub_u32_e32 v9, v0, v1
	s_cbranch_vccnz .LBB3_14
; %bb.4:                                ;   in Loop: Header=BB3_3 Depth=1
	v_mul_lo_u32 v4, v3, s31
	v_mul_lo_u32 v10, v9, s44
	v_mov_b32_e32 v1, 0
	v_mov_b32_e32 v2, 0
	v_subrev_u32_e32 v4, s47, v4
	v_subrev_u32_e32 v10, s48, v10
	s_mov_b32 s67, 0
	s_mov_b64 s[34:35], s[4:5]
	s_branch .LBB3_6
.LBB3_5:                                ;   in Loop: Header=BB3_6 Depth=2
	s_add_i32 s67, s67, 1
	s_add_u32 s34, s34, s22
	s_addc_u32 s35, s35, s23
	s_cmp_eq_u32 s67, s28
	s_cbranch_scc1 .LBB3_15
.LBB3_6:                                ;   Parent Loop BB3_3 Depth=1
                                        ; =>  This Loop Header: Depth=2
                                        ;       Child Loop BB3_9 Depth 3
                                        ;         Child Loop BB3_12 Depth 4
	s_andn2_b64 vcc, exec, s[6:7]
	s_cbranch_vccnz .LBB3_5
; %bb.7:                                ;   in Loop: Header=BB3_6 Depth=2
	s_mul_i32 s0, s13, s67
	s_mul_hi_u32 s1, s12, s67
	s_add_i32 s1, s1, s0
	s_mul_i32 s0, s12, s67
	s_lshl_b64 s[0:1], s[0:1], 1
	s_add_u32 s68, s33, s0
	s_addc_u32 s69, s51, s1
	s_mov_b32 s70, 0
	s_mov_b64 s[36:37], s[34:35]
	s_branch .LBB3_9
.LBB3_8:                                ;   in Loop: Header=BB3_9 Depth=3
	s_add_i32 s70, s70, 1
	s_add_u32 s36, s36, s20
	s_addc_u32 s37, s37, s21
	s_cmp_eq_u32 s70, s49
	s_cbranch_scc1 .LBB3_5
.LBB3_9:                                ;   Parent Loop BB3_3 Depth=1
                                        ;     Parent Loop BB3_6 Depth=2
                                        ; =>    This Loop Header: Depth=3
                                        ;         Child Loop BB3_12 Depth 4
	s_andn2_b64 vcc, exec, s[14:15]
	s_cbranch_vccnz .LBB3_8
; %bb.10:                               ;   in Loop: Header=BB3_9 Depth=3
	s_mul_i32 s0, s70, s45
	v_add_u32_e32 v14, s0, v4
	v_mad_u64_u32 v[11:12], s[0:1], s10, v14, 0
	v_cmp_gt_i32_e32 vcc, 0, v14
	v_mov_b32_e32 v15, s69
	v_mad_u64_u32 v[12:13], s[0:1], s11, v14, v[12:13]
	v_cmp_le_i32_e64 s[0:1], s24, v14
	s_or_b64 s[38:39], vcc, s[0:1]
	v_lshlrev_b64 v[11:12], 1, v[11:12]
	v_mov_b32_e32 v13, v10
	v_add_co_u32_e32 v11, vcc, s68, v11
	v_addc_co_u32_e32 v12, vcc, v15, v12, vcc
	s_mov_b64 s[52:53], s[36:37]
	s_mov_b32 s71, s50
	s_branch .LBB3_12
.LBB3_11:                               ;   in Loop: Header=BB3_12 Depth=4
	s_or_b64 exec, exec, s[0:1]
	s_add_i32 s71, s71, -1
	s_add_u32 s52, s52, s18
	s_addc_u32 s53, s53, s19
	s_cmp_eq_u32 s71, 0
	v_add_u32_e32 v13, s46, v13
	s_cbranch_scc1 .LBB3_8
.LBB3_12:                               ;   Parent Loop BB3_3 Depth=1
                                        ;     Parent Loop BB3_6 Depth=2
                                        ;       Parent Loop BB3_9 Depth=3
                                        ; =>      This Inner Loop Header: Depth=4
	v_cmp_gt_i32_e32 vcc, 0, v13
	v_cmp_le_i32_e64 s[0:1], s25, v13
	s_or_b64 s[0:1], vcc, s[0:1]
	s_nor_b64 s[72:73], s[38:39], s[0:1]
	s_and_saveexec_b64 s[0:1], s[72:73]
	s_cbranch_execz .LBB3_11
; %bb.13:                               ;   in Loop: Header=BB3_12 Depth=4
	v_mad_u64_u32 v[14:15], s[72:73], s8, v13, 0
	v_mad_u64_u32 v[15:16], s[72:73], s9, v13, v[15:16]
	v_lshlrev_b64 v[14:15], 1, v[14:15]
	v_add_co_u32_e32 v14, vcc, v11, v14
	v_addc_co_u32_e32 v15, vcc, v12, v15, vcc
	global_load_ushort v14, v[14:15], off
	s_nop 0
	global_load_ushort v15, v6, s[52:53]
	s_waitcnt vmcnt(1)
	v_cvt_f32_f16_e32 v14, v14
	s_waitcnt vmcnt(0)
	v_cvt_f32_f16_e32 v16, v15
	v_cvt_f64_f32_e32 v[14:15], v14
	v_cvt_f64_f32_e32 v[16:17], v16
	v_fma_f64 v[1:2], v[14:15], v[16:17], v[1:2]
	s_branch .LBB3_11
.LBB3_14:                               ;   in Loop: Header=BB3_3 Depth=1
	v_mov_b32_e32 v1, 0
	v_mov_b32_e32 v2, 0
.LBB3_15:                               ;   in Loop: Header=BB3_3 Depth=1
	v_ashrrev_i32_e32 v10, 31, v3
	v_mul_lo_u32 v11, s59, v3
	v_mad_u64_u32 v[3:4], s[0:1], s58, v3, 0
	v_mul_lo_u32 v10, s58, v10
	s_and_b64 vcc, exec, s[16:17]
	v_add3_u32 v4, v4, v10, v11
	v_ashrrev_i32_e32 v10, 31, v9
	v_mad_u64_u32 v[3:4], s[0:1], s56, v9, v[3:4]
	v_mul_lo_u32 v9, s57, v9
	v_mul_lo_u32 v10, s56, v10
	s_mov_b64 s[0:1], -1
	v_add3_u32 v4, v9, v4, v10
	s_cbranch_vccz .LBB3_17
; %bb.16:                               ;   in Loop: Header=BB3_3 Depth=1
	v_lshlrev_b64 v[9:10], 1, v[3:4]
	v_mov_b32_e32 v11, s61
	v_add_co_u32_e32 v9, vcc, s60, v9
	v_addc_co_u32_e32 v10, vcc, v11, v10, vcc
	global_load_ushort v11, v[9:10], off
	s_mov_b64 s[0:1], 0
	s_waitcnt vmcnt(0)
	v_cvt_f32_f16_e32 v11, v11
	v_cvt_f64_f32_e32 v[11:12], v11
	v_mul_f64 v[11:12], s[42:43], v[11:12]
	v_fma_f64 v[11:12], s[40:41], v[1:2], v[11:12]
	v_and_or_b32 v11, v12, s63, v11
	v_cmp_ne_u32_e32 vcc, 0, v11
	v_lshrrev_b32_e32 v13, 8, v12
	v_bfe_u32 v14, v12, 20, 11
	v_cndmask_b32_e64 v11, 0, 1, vcc
	v_sub_u32_e32 v15, 0x3f1, v14
	v_and_or_b32 v11, v13, s64, v11
	v_med3_i32 v13, v15, 0, 13
	v_or_b32_e32 v15, 0x1000, v11
	v_lshrrev_b32_e32 v17, v13, v15
	v_add_u32_e32 v14, 0xfffffc10, v14
	v_cmp_ne_u32_e32 vcc, 0, v11
	v_lshlrev_b32_e32 v13, v13, v17
	v_lshl_or_b32 v16, v14, 12, v11
	v_cndmask_b32_e32 v11, v7, v8, vcc
	v_cmp_ne_u32_e32 vcc, v13, v15
	v_cndmask_b32_e64 v13, 0, 1, vcc
	v_or_b32_e32 v13, v17, v13
	v_cmp_gt_i32_e32 vcc, 1, v14
	v_cndmask_b32_e32 v13, v16, v13, vcc
	v_and_b32_e32 v15, 7, v13
	v_cmp_lt_i32_e32 vcc, 5, v15
	v_cndmask_b32_e64 v16, 0, 1, vcc
	v_cmp_eq_u32_e32 vcc, 3, v15
	v_cndmask_b32_e64 v15, 0, 1, vcc
	v_lshrrev_b32_e32 v13, 2, v13
	v_or_b32_e32 v15, v15, v16
	v_add_u32_e32 v13, v13, v15
	v_cmp_gt_i32_e32 vcc, 31, v14
	v_cndmask_b32_e32 v13, v7, v13, vcc
	v_cmp_eq_u32_e32 vcc, s65, v14
	v_lshrrev_b32_e32 v12, 16, v12
	v_cndmask_b32_e32 v11, v13, v11, vcc
	v_and_or_b32 v11, v12, s66, v11
	global_store_short v[9:10], v11, off
.LBB3_17:                               ;   in Loop: Header=BB3_3 Depth=1
	s_andn2_b64 vcc, exec, s[0:1]
	s_cbranch_vccnz .LBB3_2
; %bb.18:                               ;   in Loop: Header=BB3_3 Depth=1
	v_and_or_b32 v1, v2, s63, v1
	v_cmp_ne_u32_e32 vcc, 0, v1
	v_cndmask_b32_e64 v1, 0, 1, vcc
	v_lshrrev_b32_e32 v9, 8, v2
	v_bfe_u32 v10, v2, 20, 11
	v_and_or_b32 v1, v9, s64, v1
	v_sub_u32_e32 v11, 0x3f1, v10
	v_or_b32_e32 v9, 0x1000, v1
	v_med3_i32 v11, v11, 0, 13
	v_lshrrev_b32_e32 v12, v11, v9
	v_lshlrev_b32_e32 v11, v11, v12
	v_cmp_ne_u32_e32 vcc, v11, v9
	v_cndmask_b32_e64 v9, 0, 1, vcc
	v_add_u32_e32 v10, 0xfffffc10, v10
	v_or_b32_e32 v9, v12, v9
	v_lshl_or_b32 v11, v10, 12, v1
	v_cmp_gt_i32_e32 vcc, 1, v10
	v_cndmask_b32_e32 v9, v11, v9, vcc
	v_and_b32_e32 v11, 7, v9
	v_cmp_lt_i32_e32 vcc, 5, v11
	v_cndmask_b32_e64 v12, 0, 1, vcc
	v_cmp_eq_u32_e32 vcc, 3, v11
	v_cndmask_b32_e64 v11, 0, 1, vcc
	v_or_b32_e32 v11, v11, v12
	v_lshrrev_b32_e32 v9, 2, v9
	v_add_u32_e32 v9, v9, v11
	v_cmp_gt_i32_e32 vcc, 31, v10
	v_cndmask_b32_e32 v9, v7, v9, vcc
	v_cmp_ne_u32_e32 vcc, 0, v1
	v_cndmask_b32_e32 v1, v7, v8, vcc
	v_cmp_eq_u32_e32 vcc, s65, v10
	v_cndmask_b32_e32 v1, v9, v1, vcc
	v_lshrrev_b32_e32 v2, 16, v2
	v_and_or_b32 v9, v2, s66, v1
	v_lshlrev_b64 v[1:2], 1, v[3:4]
	v_mov_b32_e32 v3, s61
	v_add_co_u32_e32 v1, vcc, s60, v1
	v_addc_co_u32_e32 v2, vcc, v3, v2, vcc
	global_store_short v[1:2], v9, off
	s_branch .LBB3_2
.LBB3_19:
	s_endpgm
	.section	.rodata,"a",@progbits
	.p2align	6, 0x0
	.amdhsa_kernel naive_conv_ab_nonpacked_fwd_nchw_half_double_half
		.amdhsa_group_segment_fixed_size 0
		.amdhsa_private_segment_fixed_size 0
		.amdhsa_kernarg_size 480
		.amdhsa_user_sgpr_count 6
		.amdhsa_user_sgpr_private_segment_buffer 1
		.amdhsa_user_sgpr_dispatch_ptr 0
		.amdhsa_user_sgpr_queue_ptr 0
		.amdhsa_user_sgpr_kernarg_segment_ptr 1
		.amdhsa_user_sgpr_dispatch_id 0
		.amdhsa_user_sgpr_flat_scratch_init 0
		.amdhsa_user_sgpr_private_segment_size 0
		.amdhsa_uses_dynamic_stack 0
		.amdhsa_system_sgpr_private_segment_wavefront_offset 0
		.amdhsa_system_sgpr_workgroup_id_x 1
		.amdhsa_system_sgpr_workgroup_id_y 0
		.amdhsa_system_sgpr_workgroup_id_z 0
		.amdhsa_system_sgpr_workgroup_info 0
		.amdhsa_system_vgpr_workitem_id 0
		.amdhsa_next_free_vgpr 18
		.amdhsa_next_free_sgpr 74
		.amdhsa_reserve_vcc 1
		.amdhsa_reserve_flat_scratch 0
		.amdhsa_float_round_mode_32 0
		.amdhsa_float_round_mode_16_64 0
		.amdhsa_float_denorm_mode_32 3
		.amdhsa_float_denorm_mode_16_64 3
		.amdhsa_dx10_clamp 1
		.amdhsa_ieee_mode 1
		.amdhsa_fp16_overflow 0
		.amdhsa_exception_fp_ieee_invalid_op 0
		.amdhsa_exception_fp_denorm_src 0
		.amdhsa_exception_fp_ieee_div_zero 0
		.amdhsa_exception_fp_ieee_overflow 0
		.amdhsa_exception_fp_ieee_underflow 0
		.amdhsa_exception_fp_ieee_inexact 0
		.amdhsa_exception_int_div_zero 0
	.end_amdhsa_kernel
	.text
.Lfunc_end3:
	.size	naive_conv_ab_nonpacked_fwd_nchw_half_double_half, .Lfunc_end3-naive_conv_ab_nonpacked_fwd_nchw_half_double_half
                                        ; -- End function
	.set naive_conv_ab_nonpacked_fwd_nchw_half_double_half.num_vgpr, 18
	.set naive_conv_ab_nonpacked_fwd_nchw_half_double_half.num_agpr, 0
	.set naive_conv_ab_nonpacked_fwd_nchw_half_double_half.numbered_sgpr, 74
	.set naive_conv_ab_nonpacked_fwd_nchw_half_double_half.num_named_barrier, 0
	.set naive_conv_ab_nonpacked_fwd_nchw_half_double_half.private_seg_size, 0
	.set naive_conv_ab_nonpacked_fwd_nchw_half_double_half.uses_vcc, 1
	.set naive_conv_ab_nonpacked_fwd_nchw_half_double_half.uses_flat_scratch, 0
	.set naive_conv_ab_nonpacked_fwd_nchw_half_double_half.has_dyn_sized_stack, 0
	.set naive_conv_ab_nonpacked_fwd_nchw_half_double_half.has_recursion, 0
	.set naive_conv_ab_nonpacked_fwd_nchw_half_double_half.has_indirect_call, 0
	.section	.AMDGPU.csdata,"",@progbits
; Kernel info:
; codeLenInByte = 1916
; TotalNumSgprs: 78
; NumVgprs: 18
; ScratchSize: 0
; MemoryBound: 0
; FloatMode: 240
; IeeeMode: 1
; LDSByteSize: 0 bytes/workgroup (compile time only)
; SGPRBlocks: 9
; VGPRBlocks: 4
; NumSGPRsForWavesPerEU: 78
; NumVGPRsForWavesPerEU: 18
; Occupancy: 10
; WaveLimiterHint : 0
; COMPUTE_PGM_RSRC2:SCRATCH_EN: 0
; COMPUTE_PGM_RSRC2:USER_SGPR: 6
; COMPUTE_PGM_RSRC2:TRAP_HANDLER: 0
; COMPUTE_PGM_RSRC2:TGID_X_EN: 1
; COMPUTE_PGM_RSRC2:TGID_Y_EN: 0
; COMPUTE_PGM_RSRC2:TGID_Z_EN: 0
; COMPUTE_PGM_RSRC2:TIDIG_COMP_CNT: 0
	.text
	.protected	naive_conv_ab_packed_fwd_nchw_ushort_double_ushort ; -- Begin function naive_conv_ab_packed_fwd_nchw_ushort_double_ushort
	.globl	naive_conv_ab_packed_fwd_nchw_ushort_double_ushort
	.p2align	8
	.type	naive_conv_ab_packed_fwd_nchw_ushort_double_ushort,@function
naive_conv_ab_packed_fwd_nchw_ushort_double_ushort: ; @naive_conv_ab_packed_fwd_nchw_ushort_double_ushort
; %bb.0:
	s_load_dwordx16 s[8:23], s[4:5], 0xa0
	s_abs_i32 s2, s6
	s_waitcnt lgkmcnt(0)
	s_abs_i32 s0, s11
	v_cvt_f32_u32_e32 v1, s0
	s_sub_i32 s1, 0, s0
	s_mul_i32 s34, s11, s10
	s_mul_i32 s33, s14, s13
	v_rcp_iflag_f32_e32 v1, v1
	v_cmp_gt_i32_e32 vcc, s33, v0
	v_mul_f32_e32 v1, 0x4f7ffffe, v1
	v_cvt_u32_f32_e32 v1, v1
	v_readfirstlane_b32 s3, v1
	s_mul_i32 s1, s1, s3
	s_mul_hi_u32 s1, s3, s1
	s_add_i32 s3, s3, s1
	s_mul_hi_u32 s1, s2, s3
	s_mul_i32 s3, s1, s0
	s_sub_i32 s3, s2, s3
	s_add_i32 s7, s1, 1
	s_sub_i32 s24, s3, s0
	s_cmp_ge_u32 s3, s0
	s_cselect_b32 s1, s7, s1
	s_cselect_b32 s3, s24, s3
	s_add_i32 s7, s1, 1
	s_cmp_ge_u32 s3, s0
	s_cselect_b32 s35, s7, s1
	s_abs_i32 s7, s10
	s_abs_i32 s3, s34
	v_cvt_f32_u32_e32 v1, s7
	v_cvt_f32_u32_e32 v2, s3
	v_rcp_iflag_f32_e32 v1, v1
	v_rcp_iflag_f32_e32 v2, v2
	v_mul_f32_e32 v1, 0x4f7ffffe, v1
	v_mul_f32_e32 v2, 0x4f7ffffe, v2
	v_cvt_u32_f32_e32 v1, v1
	v_cvt_u32_f32_e32 v2, v2
	v_readfirstlane_b32 s36, v1
	v_readfirstlane_b32 s10, v2
	s_and_saveexec_b64 s[0:1], vcc
	s_cbranch_execz .LBB4_19
; %bb.1:
	s_ashr_i32 s37, s6, 31
	s_ashr_i32 s38, s11, 31
	s_xor_b32 s38, s37, s38
	s_sub_i32 s40, 0, s7
	s_xor_b32 s35, s35, s38
	s_mul_i32 s40, s40, s36
	s_sub_i32 s35, s35, s38
	s_mul_hi_u32 s40, s36, s40
	s_abs_i32 s39, s35
	s_add_i32 s36, s36, s40
	s_mul_hi_u32 s36, s39, s36
	s_sub_i32 s40, 0, s3
	s_ashr_i32 s38, s35, 31
	s_mul_i32 s40, s40, s10
	s_mul_i32 s35, s35, s11
	s_mul_i32 s36, s36, s7
	s_mul_hi_u32 s40, s10, s40
	s_sub_i32 s6, s6, s35
	s_sub_i32 s35, s39, s36
	s_ashr_i32 s34, s34, 31
	s_add_i32 s10, s10, s40
	s_sub_i32 s36, s35, s7
	s_cmp_ge_u32 s35, s7
	s_cselect_b32 s35, s36, s35
	s_sub_i32 s36, s35, s7
	s_mul_hi_u32 s10, s2, s10
	s_cmp_ge_u32 s35, s7
	s_cselect_b32 s7, s36, s35
	s_mul_i32 s35, s10, s3
	s_xor_b32 s7, s7, s38
	s_sub_i32 s2, s2, s35
	s_sub_i32 s7, s7, s38
	s_xor_b32 s34, s37, s34
	s_add_i32 s35, s10, 1
	s_sub_i32 s36, s2, s3
	s_cmp_ge_u32 s2, s3
	s_cselect_b32 s10, s35, s10
	s_cselect_b32 s2, s36, s2
	s_add_i32 s35, s10, 1
	s_cmp_ge_u32 s2, s3
	s_cselect_b32 s2, s35, s10
	s_xor_b32 s2, s2, s34
	s_mul_i32 s40, s23, s11
	s_mul_i32 s23, s23, s12
	s_sub_i32 s10, s2, s34
	s_mul_i32 s3, s7, s23
	s_ashr_i32 s44, s8, 31
	s_ashr_i32 s45, s9, 31
	;; [unrolled: 1-line block ×3, first 2 shown]
	s_mul_i32 s35, s10, s12
	s_mul_hi_i32 s2, s7, s23
	s_mul_hi_i32 s23, s10, s12
	s_add_u32 s35, s35, s3
	s_addc_u32 s2, s23, s2
	s_mul_i32 s23, s9, s8
	s_load_dwordx8 s[24:31], s[4:5], 0x0
	s_load_dwordx2 s[0:1], s[4:5], 0x20
	s_mul_hi_i32 s3, s9, s8
	s_mul_i32 s2, s23, s2
	s_mul_hi_u32 s36, s23, s35
	s_add_i32 s2, s36, s2
	s_mul_i32 s3, s3, s35
	s_add_i32 s3, s2, s3
	s_mul_i32 s2, s23, s35
	s_lshl_b64 s[2:3], s[2:3], 1
	s_waitcnt lgkmcnt(0)
	s_add_u32 s46, s24, s2
	s_addc_u32 s47, s25, s3
	s_mul_hi_i32 s2, s10, s11
	s_mul_i32 s10, s10, s11
	s_ashr_i32 s23, s22, 31
	s_ashr_i32 s3, s6, 31
	s_add_u32 s24, s10, s6
	s_addc_u32 s25, s2, s3
	s_mul_hi_i32 s2, s7, s40
	s_mul_i32 s7, s7, s40
	s_ashr_i32 s48, s14, 31
	s_add_u32 s6, s24, s7
	s_addc_u32 s2, s25, s2
	s_mul_hi_i32 s3, s14, s13
	s_mul_i32 s2, s33, s2
	s_mul_hi_u32 s7, s33, s6
	s_add_i32 s2, s7, s2
	s_mul_i32 s3, s3, s6
	s_add_i32 s3, s2, s3
	s_mul_i32 s2, s33, s6
	s_lshl_b64 s[2:3], s[2:3], 1
	s_add_u32 s13, s0, s2
	s_addc_u32 s49, s1, s3
	s_cmp_gt_i32 s12, 0
	s_cselect_b64 s[2:3], -1, 0
	s_cmp_gt_i32 s21, 0
	s_load_dword s35, s[4:5], 0xec
	s_cselect_b64 s[4:5], -1, 0
	s_cmp_gt_i32 s22, 0
	s_cselect_b64 s[6:7], -1, 0
	s_abs_i32 s50, s14
	v_cvt_f32_u32_e32 v1, s50
	v_cmp_neq_f64_e64 s[0:1], s[28:29], 1.0
	v_cmp_neq_f64_e64 s[10:11], s[30:31], 0
	s_sub_i32 s36, 0, s50
	v_rcp_iflag_f32_e32 v1, v1
	s_mov_b32 s53, s21
	s_waitcnt lgkmcnt(0)
	s_and_b32 s54, s35, 0xffff
	s_mov_b32 s51, s8
	v_mul_f32_e32 v1, 0x4f7ffffe, v1
	v_cvt_u32_f32_e32 v1, v1
	s_or_b64 s[10:11], s[0:1], s[10:11]
	s_mul_i32 s0, s22, s21
	s_mul_i32 s1, s0, s25
	v_mul_lo_u32 v2, s36, v1
	s_mul_hi_u32 s25, s0, s24
	s_add_i32 s25, s25, s1
	s_mul_hi_i32 s1, s22, s21
	s_mul_i32 s21, s1, s24
	s_mul_i32 s24, s0, s24
	s_add_i32 s21, s25, s21
	s_mul_i32 s25, s24, s34
	s_mul_hi_u32 s34, s24, s12
	v_mul_hi_u32 v2, v1, v2
	s_add_i32 s25, s34, s25
	s_mul_i32 s21, s21, s12
	s_add_i32 s25, s25, s21
	s_mul_i32 s24, s24, s12
	s_lshl_b64 s[24:25], s[24:25], 1
	s_add_u32 s24, s26, s24
	s_mov_b32 s52, s9
	s_mov_b64 s[8:9], 0
	v_add_u32_e32 v7, v1, v2
	v_mov_b32_e32 v2, 0
	s_addc_u32 s25, s27, s25
	s_lshl_b64 s[26:27], s[0:1], 1
	s_lshl_b64 s[34:35], s[22:23], 1
	s_mov_b32 s21, 0x7f800000
	s_branch .LBB4_3
.LBB4_2:                                ;   in Loop: Header=BB4_3 Depth=1
	v_add_u32_e32 v0, s54, v0
	v_cmp_le_i32_e32 vcc, s33, v0
	s_or_b64 s[8:9], vcc, s[8:9]
	s_andn2_b64 exec, exec, s[8:9]
	s_cbranch_execz .LBB4_19
.LBB4_3:                                ; =>This Loop Header: Depth=1
                                        ;     Child Loop BB4_6 Depth 2
                                        ;       Child Loop BB4_9 Depth 3
                                        ;         Child Loop BB4_12 Depth 4
	v_sub_u32_e32 v1, 0, v0
	v_max_i32_e32 v1, v0, v1
	v_mul_hi_u32 v3, v1, v7
	v_ashrrev_i32_e32 v5, 31, v0
	v_xor_b32_e32 v5, s48, v5
	v_mul_lo_u32 v4, v3, s50
	v_add_u32_e32 v6, 1, v3
	v_sub_u32_e32 v1, v1, v4
	v_cmp_le_u32_e32 vcc, s50, v1
	v_subrev_u32_e32 v4, s50, v1
	v_cndmask_b32_e32 v3, v3, v6, vcc
	v_cndmask_b32_e32 v1, v1, v4, vcc
	v_add_u32_e32 v4, 1, v3
	v_cmp_le_u32_e32 vcc, s50, v1
	v_cndmask_b32_e32 v1, v3, v4, vcc
	v_xor_b32_e32 v1, v1, v5
	v_sub_u32_e32 v8, v1, v5
	v_mul_lo_u32 v1, v8, s14
	s_andn2_b64 vcc, exec, s[2:3]
	v_sub_u32_e32 v5, v0, v1
	s_cbranch_vccnz .LBB4_14
; %bb.4:                                ;   in Loop: Header=BB4_3 Depth=1
	v_mul_lo_u32 v1, v8, s15
	v_mul_lo_u32 v9, v5, s16
	v_mov_b32_e32 v3, 0
	v_mov_b32_e32 v4, 0
	v_subrev_u32_e32 v6, s19, v1
	v_subrev_u32_e32 v9, s20, v9
	s_mov_b32 s23, 0
	s_mov_b64 s[36:37], s[24:25]
	s_branch .LBB4_6
.LBB4_5:                                ;   in Loop: Header=BB4_6 Depth=2
	s_add_i32 s23, s23, 1
	s_add_u32 s36, s36, s26
	s_addc_u32 s37, s37, s27
	s_cmp_eq_u32 s23, s12
	s_cbranch_scc1 .LBB4_15
.LBB4_6:                                ;   Parent Loop BB4_3 Depth=1
                                        ; =>  This Loop Header: Depth=2
                                        ;       Child Loop BB4_9 Depth 3
                                        ;         Child Loop BB4_12 Depth 4
	s_andn2_b64 vcc, exec, s[4:5]
	s_cbranch_vccnz .LBB4_5
; %bb.7:                                ;   in Loop: Header=BB4_6 Depth=2
	s_mul_i32 s0, s23, s44
	s_mul_hi_u32 s1, s23, s51
	s_add_i32 s55, s1, s0
	s_mul_i32 s56, s23, s51
	s_mov_b32 s57, 0
	s_mov_b64 s[38:39], s[36:37]
	s_branch .LBB4_9
.LBB4_8:                                ;   in Loop: Header=BB4_9 Depth=3
	s_add_i32 s57, s57, 1
	s_add_u32 s38, s38, s34
	s_addc_u32 s39, s39, s35
	s_cmp_eq_u32 s57, s53
	s_cbranch_scc1 .LBB4_5
.LBB4_9:                                ;   Parent Loop BB4_3 Depth=1
                                        ;     Parent Loop BB4_6 Depth=2
                                        ; =>    This Loop Header: Depth=3
                                        ;         Child Loop BB4_12 Depth 4
	s_andn2_b64 vcc, exec, s[6:7]
	s_cbranch_vccnz .LBB4_8
; %bb.10:                               ;   in Loop: Header=BB4_9 Depth=3
	s_mul_i32 s0, s57, s17
	v_add_u32_e32 v1, s0, v6
	v_mov_b32_e32 v10, s55
	v_add_co_u32_e32 v11, vcc, s56, v1
	v_addc_co_u32_e32 v10, vcc, 0, v10, vcc
	v_mul_lo_u32 v12, v10, s52
	v_mul_lo_u32 v13, v11, s45
	v_mad_u64_u32 v[10:11], s[0:1], v11, s52, 0
	v_cmp_gt_i32_e32 vcc, 0, v1
	v_cmp_le_i32_e64 s[0:1], s51, v1
	v_add3_u32 v11, v11, v13, v12
	v_lshlrev_b64 v[10:11], 1, v[10:11]
	s_or_b64 s[40:41], vcc, s[0:1]
	v_mov_b32_e32 v1, s47
	v_add_co_u32_e32 v10, vcc, s46, v10
	v_addc_co_u32_e32 v11, vcc, v1, v11, vcc
	v_mov_b32_e32 v1, v9
	s_mov_b64 s[42:43], s[38:39]
	s_mov_b32 s58, s22
	s_branch .LBB4_12
.LBB4_11:                               ;   in Loop: Header=BB4_12 Depth=4
	s_or_b64 exec, exec, s[0:1]
	s_add_i32 s58, s58, -1
	s_add_u32 s42, s42, 2
	s_addc_u32 s43, s43, 0
	s_cmp_eq_u32 s58, 0
	v_add_u32_e32 v1, s18, v1
	s_cbranch_scc1 .LBB4_8
.LBB4_12:                               ;   Parent Loop BB4_3 Depth=1
                                        ;     Parent Loop BB4_6 Depth=2
                                        ;       Parent Loop BB4_9 Depth=3
                                        ; =>      This Inner Loop Header: Depth=4
	v_cmp_gt_i32_e32 vcc, 0, v1
	v_cmp_le_i32_e64 s[0:1], s52, v1
	s_or_b64 s[0:1], vcc, s[0:1]
	s_nor_b64 s[60:61], s[40:41], s[0:1]
	s_and_saveexec_b64 s[0:1], s[60:61]
	s_cbranch_execz .LBB4_11
; %bb.13:                               ;   in Loop: Header=BB4_12 Depth=4
	v_lshlrev_b64 v[12:13], 1, v[1:2]
	v_add_co_u32_e32 v12, vcc, v10, v12
	v_addc_co_u32_e32 v13, vcc, v11, v13, vcc
	global_load_ushort v14, v2, s[42:43]
	s_nop 0
	global_load_ushort v12, v[12:13], off
	s_waitcnt vmcnt(1)
	v_lshlrev_b32_e32 v13, 16, v14
	s_waitcnt vmcnt(0)
	v_lshlrev_b32_e32 v14, 16, v12
	v_cvt_f64_f32_e32 v[12:13], v13
	v_cvt_f64_f32_e32 v[14:15], v14
	v_fma_f64 v[3:4], v[14:15], v[12:13], v[3:4]
	s_branch .LBB4_11
.LBB4_14:                               ;   in Loop: Header=BB4_3 Depth=1
	v_mov_b32_e32 v3, 0
	v_mov_b32_e32 v4, 0
.LBB4_15:                               ;   in Loop: Header=BB4_3 Depth=1
	v_ashrrev_i32_e32 v6, 31, v5
	v_mad_i64_i32 v[5:6], s[0:1], v8, s14, v[5:6]
	s_mov_b64 s[0:1], -1
	s_and_b64 vcc, exec, s[10:11]
	s_cbranch_vccz .LBB4_17
; %bb.16:                               ;   in Loop: Header=BB4_3 Depth=1
	v_lshlrev_b64 v[8:9], 1, v[5:6]
	v_mov_b32_e32 v1, s49
	v_add_co_u32_e32 v8, vcc, s13, v8
	v_addc_co_u32_e32 v9, vcc, v1, v9, vcc
	global_load_ushort v1, v[8:9], off
	s_waitcnt vmcnt(0)
	v_lshlrev_b32_e32 v1, 16, v1
	v_cvt_f64_f32_e32 v[10:11], v1
	v_mul_f64 v[10:11], s[30:31], v[10:11]
	v_fma_f64 v[10:11], s[28:29], v[3:4], v[10:11]
	v_cvt_f32_f64_e32 v1, v[10:11]
	v_and_b32_e32 v10, 0x7f800000, v1
	v_cmp_ne_u32_sdwa s[0:1], v1, v2 src0_sel:WORD_0 src1_sel:DWORD
	v_cmp_eq_u32_e32 vcc, s21, v10
	s_and_b64 s[0:1], vcc, s[0:1]
	v_cndmask_b32_e64 v10, 0, 1, s[0:1]
	v_or_b32_sdwa v1, v1, v10 dst_sel:DWORD dst_unused:UNUSED_PAD src0_sel:WORD_1 src1_sel:DWORD
	global_store_short v[8:9], v1, off
	s_mov_b64 s[0:1], 0
.LBB4_17:                               ;   in Loop: Header=BB4_3 Depth=1
	s_andn2_b64 vcc, exec, s[0:1]
	s_cbranch_vccnz .LBB4_2
; %bb.18:                               ;   in Loop: Header=BB4_3 Depth=1
	v_cvt_f32_f64_e32 v1, v[3:4]
	v_lshlrev_b64 v[3:4], 1, v[5:6]
	v_and_b32_e32 v5, 0x7f800000, v1
	v_cmp_ne_u32_sdwa s[0:1], v1, v2 src0_sel:WORD_0 src1_sel:DWORD
	v_cmp_eq_u32_e32 vcc, s21, v5
	s_and_b64 s[0:1], vcc, s[0:1]
	v_cndmask_b32_e64 v5, 0, 1, s[0:1]
	v_or_b32_sdwa v1, v1, v5 dst_sel:DWORD dst_unused:UNUSED_PAD src0_sel:WORD_1 src1_sel:DWORD
	v_mov_b32_e32 v5, s49
	v_add_co_u32_e32 v3, vcc, s13, v3
	v_addc_co_u32_e32 v4, vcc, v5, v4, vcc
	global_store_short v[3:4], v1, off
	s_branch .LBB4_2
.LBB4_19:
	s_endpgm
	.section	.rodata,"a",@progbits
	.p2align	6, 0x0
	.amdhsa_kernel naive_conv_ab_packed_fwd_nchw_ushort_double_ushort
		.amdhsa_group_segment_fixed_size 0
		.amdhsa_private_segment_fixed_size 0
		.amdhsa_kernarg_size 480
		.amdhsa_user_sgpr_count 6
		.amdhsa_user_sgpr_private_segment_buffer 1
		.amdhsa_user_sgpr_dispatch_ptr 0
		.amdhsa_user_sgpr_queue_ptr 0
		.amdhsa_user_sgpr_kernarg_segment_ptr 1
		.amdhsa_user_sgpr_dispatch_id 0
		.amdhsa_user_sgpr_flat_scratch_init 0
		.amdhsa_user_sgpr_private_segment_size 0
		.amdhsa_uses_dynamic_stack 0
		.amdhsa_system_sgpr_private_segment_wavefront_offset 0
		.amdhsa_system_sgpr_workgroup_id_x 1
		.amdhsa_system_sgpr_workgroup_id_y 0
		.amdhsa_system_sgpr_workgroup_id_z 0
		.amdhsa_system_sgpr_workgroup_info 0
		.amdhsa_system_vgpr_workitem_id 0
		.amdhsa_next_free_vgpr 16
		.amdhsa_next_free_sgpr 62
		.amdhsa_reserve_vcc 1
		.amdhsa_reserve_flat_scratch 0
		.amdhsa_float_round_mode_32 0
		.amdhsa_float_round_mode_16_64 0
		.amdhsa_float_denorm_mode_32 3
		.amdhsa_float_denorm_mode_16_64 3
		.amdhsa_dx10_clamp 1
		.amdhsa_ieee_mode 1
		.amdhsa_fp16_overflow 0
		.amdhsa_exception_fp_ieee_invalid_op 0
		.amdhsa_exception_fp_denorm_src 0
		.amdhsa_exception_fp_ieee_div_zero 0
		.amdhsa_exception_fp_ieee_overflow 0
		.amdhsa_exception_fp_ieee_underflow 0
		.amdhsa_exception_fp_ieee_inexact 0
		.amdhsa_exception_int_div_zero 0
	.end_amdhsa_kernel
	.text
.Lfunc_end4:
	.size	naive_conv_ab_packed_fwd_nchw_ushort_double_ushort, .Lfunc_end4-naive_conv_ab_packed_fwd_nchw_ushort_double_ushort
                                        ; -- End function
	.set naive_conv_ab_packed_fwd_nchw_ushort_double_ushort.num_vgpr, 16
	.set naive_conv_ab_packed_fwd_nchw_ushort_double_ushort.num_agpr, 0
	.set naive_conv_ab_packed_fwd_nchw_ushort_double_ushort.numbered_sgpr, 62
	.set naive_conv_ab_packed_fwd_nchw_ushort_double_ushort.num_named_barrier, 0
	.set naive_conv_ab_packed_fwd_nchw_ushort_double_ushort.private_seg_size, 0
	.set naive_conv_ab_packed_fwd_nchw_ushort_double_ushort.uses_vcc, 1
	.set naive_conv_ab_packed_fwd_nchw_ushort_double_ushort.uses_flat_scratch, 0
	.set naive_conv_ab_packed_fwd_nchw_ushort_double_ushort.has_dyn_sized_stack, 0
	.set naive_conv_ab_packed_fwd_nchw_ushort_double_ushort.has_recursion, 0
	.set naive_conv_ab_packed_fwd_nchw_ushort_double_ushort.has_indirect_call, 0
	.section	.AMDGPU.csdata,"",@progbits
; Kernel info:
; codeLenInByte = 1472
; TotalNumSgprs: 66
; NumVgprs: 16
; ScratchSize: 0
; MemoryBound: 0
; FloatMode: 240
; IeeeMode: 1
; LDSByteSize: 0 bytes/workgroup (compile time only)
; SGPRBlocks: 8
; VGPRBlocks: 3
; NumSGPRsForWavesPerEU: 66
; NumVGPRsForWavesPerEU: 16
; Occupancy: 10
; WaveLimiterHint : 0
; COMPUTE_PGM_RSRC2:SCRATCH_EN: 0
; COMPUTE_PGM_RSRC2:USER_SGPR: 6
; COMPUTE_PGM_RSRC2:TRAP_HANDLER: 0
; COMPUTE_PGM_RSRC2:TGID_X_EN: 1
; COMPUTE_PGM_RSRC2:TGID_Y_EN: 0
; COMPUTE_PGM_RSRC2:TGID_Z_EN: 0
; COMPUTE_PGM_RSRC2:TIDIG_COMP_CNT: 0
	.text
	.protected	naive_conv_ab_nonpacked_fwd_nchw_ushort_double_ushort ; -- Begin function naive_conv_ab_nonpacked_fwd_nchw_ushort_double_ushort
	.globl	naive_conv_ab_nonpacked_fwd_nchw_ushort_double_ushort
	.p2align	8
	.type	naive_conv_ab_nonpacked_fwd_nchw_ushort_double_ushort,@function
naive_conv_ab_nonpacked_fwd_nchw_ushort_double_ushort: ; @naive_conv_ab_nonpacked_fwd_nchw_ushort_double_ushort
; %bb.0:
	s_load_dwordx8 s[24:31], s[4:5], 0xa0
	s_abs_i32 s7, s6
	s_waitcnt lgkmcnt(0)
	s_abs_i32 s1, s27
	v_cvt_f32_u32_e32 v1, s1
	s_sub_i32 s2, 0, s1
	s_mul_i32 s0, s27, s26
	s_mul_i32 s29, s30, s29
	v_rcp_iflag_f32_e32 v1, v1
	v_cmp_gt_i32_e32 vcc, s29, v0
	v_mul_f32_e32 v1, 0x4f7ffffe, v1
	v_cvt_u32_f32_e32 v1, v1
	v_readfirstlane_b32 s3, v1
	s_mul_i32 s2, s2, s3
	s_mul_hi_u32 s2, s3, s2
	s_add_i32 s3, s3, s2
	s_mul_hi_u32 s2, s7, s3
	s_mul_i32 s3, s2, s1
	s_sub_i32 s3, s7, s3
	s_add_i32 s8, s2, 1
	s_sub_i32 s9, s3, s1
	s_cmp_ge_u32 s3, s1
	s_cselect_b32 s2, s8, s2
	s_cselect_b32 s3, s9, s3
	s_add_i32 s8, s2, 1
	s_cmp_ge_u32 s3, s1
	s_cselect_b32 s1, s8, s2
	s_abs_i32 s33, s26
	s_abs_i32 s26, s0
	v_cvt_f32_u32_e32 v1, s33
	v_cvt_f32_u32_e32 v2, s26
	v_rcp_iflag_f32_e32 v1, v1
	v_rcp_iflag_f32_e32 v2, v2
	v_mul_f32_e32 v1, 0x4f7ffffe, v1
	v_mul_f32_e32 v2, 0x4f7ffffe, v2
	v_cvt_u32_f32_e32 v1, v1
	v_cvt_u32_f32_e32 v2, v2
	v_readfirstlane_b32 s3, v1
	v_readfirstlane_b32 s2, v2
	s_and_saveexec_b64 s[8:9], vcc
	s_cbranch_execz .LBB5_19
; %bb.1:
	s_load_dwordx8 s[36:43], s[4:5], 0x0
	s_load_dwordx2 s[34:35], s[4:5], 0x20
	s_load_dwordx8 s[44:51], s[4:5], 0xc0
	s_waitcnt lgkmcnt(0)
	s_ashr_i32 s51, s6, 31
	s_ashr_i32 s8, s27, 31
	s_xor_b32 s8, s51, s8
	s_xor_b32 s1, s1, s8
	s_sub_i32 s1, s1, s8
	s_sub_i32 s8, 0, s33
	s_mul_i32 s8, s8, s3
	s_mul_hi_u32 s8, s3, s8
	s_abs_i32 s55, s1
	s_add_i32 s3, s3, s8
	s_mul_hi_u32 s56, s55, s3
	s_ashr_i32 s57, s0, 31
	s_sub_i32 s0, 0, s26
	s_ashr_i32 s54, s1, 31
	s_mul_i32 s0, s0, s2
	s_mul_i32 s1, s1, s27
	;; [unrolled: 1-line block ×3, first 2 shown]
	s_mul_hi_u32 s0, s2, s0
	s_sub_i32 s62, s6, s1
	s_sub_i32 s6, s55, s56
	s_add_i32 s2, s2, s0
	s_sub_i32 s27, s6, s33
	s_cmp_ge_u32 s6, s33
	s_cselect_b32 s6, s27, s6
	s_sub_i32 s27, s6, s33
	s_mul_hi_u32 s58, s7, s2
	s_cmp_ge_u32 s6, s33
	s_cselect_b32 s6, s27, s6
	s_mul_i32 s33, s58, s26
	s_xor_b32 s6, s6, s54
	s_sub_i32 s7, s7, s33
	s_sub_i32 s27, s6, s54
	s_xor_b32 s6, s51, s57
	s_add_i32 s33, s58, 1
	s_sub_i32 s51, s7, s26
	s_cmp_ge_u32 s7, s26
	s_load_dwordx16 s[8:23], s[4:5], 0x28
	s_cselect_b32 s33, s33, s58
	s_cselect_b32 s7, s51, s7
	s_add_i32 s51, s33, 1
	s_cmp_ge_u32 s7, s26
	s_cselect_b32 s7, s51, s33
	s_xor_b32 s7, s7, s6
	s_ashr_i32 s26, s27, 31
	s_sub_i32 s63, s7, s6
	s_waitcnt lgkmcnt(0)
	s_mul_i32 s6, s16, s26
	s_mul_hi_u32 s7, s16, s27
	s_add_i32 s6, s7, s6
	s_mul_i32 s7, s17, s27
	s_ashr_i32 s64, s63, 31
	s_load_dwordx2 s[52:53], s[4:5], 0x98
	s_load_dwordx4 s[0:3], s[4:5], 0x88
	s_add_i32 s7, s6, s7
	s_mul_i32 s6, s16, s27
	s_mul_i32 s16, s14, s64
	s_mul_hi_u32 s17, s14, s63
	s_add_i32 s16, s17, s16
	s_mul_i32 s15, s15, s63
	s_add_i32 s15, s16, s15
	s_lshl_b64 s[6:7], s[6:7], 1
	s_mul_i32 s14, s14, s63
	s_add_u32 s16, s36, s6
	s_addc_u32 s17, s37, s7
	s_lshl_b64 s[6:7], s[14:15], 1
	s_add_u32 s33, s16, s6
	s_waitcnt lgkmcnt(0)
	s_mul_i32 s14, s2, s64
	s_mul_hi_u32 s15, s2, s63
	s_addc_u32 s51, s17, s7
	s_ashr_i32 s36, s62, 31
	s_mul_i32 s6, s52, s26
	s_mul_hi_u32 s7, s52, s27
	s_add_i32 s14, s15, s14
	s_mul_i32 s3, s3, s63
	s_add_i32 s6, s7, s6
	s_mul_i32 s7, s53, s27
	;; [unrolled: 2-line block ×3, first 2 shown]
	s_mul_hi_u32 s15, s0, s62
	s_add_i32 s7, s6, s7
	s_mul_i32 s6, s52, s27
	s_add_i32 s14, s15, s14
	s_mul_i32 s1, s1, s62
	s_add_i32 s1, s14, s1
	s_lshl_b64 s[6:7], s[6:7], 1
	s_mul_i32 s2, s2, s63
	s_add_u32 s6, s34, s6
	s_addc_u32 s7, s35, s7
	s_lshl_b64 s[2:3], s[2:3], 1
	v_cmp_neq_f64_e64 s[16:17], s[40:41], 1.0
	v_cmp_neq_f64_e64 s[26:27], s[42:43], 0
	s_mul_i32 s0, s0, s62
	s_add_u32 s2, s6, s2
	s_addc_u32 s3, s7, s3
	s_lshl_b64 s[0:1], s[0:1], 1
	s_add_u32 s60, s2, s0
	s_addc_u32 s61, s3, s1
	s_cmp_gt_i32 s28, 0
	s_cselect_b64 s[2:3], -1, 0
	s_cmp_gt_i32 s49, 0
	s_cselect_b64 s[6:7], -1, 0
	;; [unrolled: 2-line block ×3, first 2 shown]
	s_or_b64 s[16:17], s[16:17], s[26:27]
	s_load_dword s26, s[4:5], 0xec
	s_load_dwordx8 s[52:59], s[4:5], 0x68
	v_mov_b32_e32 v6, 0
	s_waitcnt lgkmcnt(0)
	s_mul_i32 s0, s52, s36
	s_mul_hi_u32 s1, s52, s62
	s_add_i32 s0, s1, s0
	s_mul_i32 s1, s53, s62
	s_add_i32 s1, s0, s1
	s_mul_i32 s0, s52, s62
	s_abs_i32 s62, s30
	v_cvt_f32_u32_e32 v1, s62
	s_mul_i32 s4, s54, s64
	s_mul_hi_u32 s5, s54, s63
	s_add_i32 s4, s5, s4
	v_rcp_iflag_f32_e32 v1, v1
	s_mul_i32 s5, s55, s63
	s_add_i32 s5, s4, s5
	s_mul_i32 s4, s54, s63
	v_mul_f32_e32 v1, 0x4f7ffffe, v1
	v_cvt_u32_f32_e32 v1, v1
	s_and_b32 s54, s26, 0xffff
	s_sub_i32 s26, 0, s62
	s_lshl_b64 s[0:1], s[0:1], 1
	v_mul_lo_u32 v2, s26, v1
	s_lshl_b64 s[4:5], s[4:5], 1
	s_ashr_i32 s55, s30, 31
	s_add_u32 s0, s0, s4
	v_mul_hi_u32 v2, v1, v2
	s_addc_u32 s1, s1, s5
	s_add_u32 s4, s38, s0
	s_addc_u32 s5, s39, s1
	v_add_u32_e32 v5, v1, v2
	s_mov_b32 s63, 0x7f800000
	s_mov_b64 s[26:27], 0
	s_lshl_b64 s[22:23], s[22:23], 1
	s_lshl_b64 s[20:21], s[20:21], 1
	;; [unrolled: 1-line block ×3, first 2 shown]
	s_branch .LBB5_3
.LBB5_2:                                ;   in Loop: Header=BB5_3 Depth=1
	v_add_u32_e32 v0, s54, v0
	v_cmp_le_i32_e32 vcc, s29, v0
	s_or_b64 s[26:27], vcc, s[26:27]
	s_andn2_b64 exec, exec, s[26:27]
	s_cbranch_execz .LBB5_19
.LBB5_3:                                ; =>This Loop Header: Depth=1
                                        ;     Child Loop BB5_6 Depth 2
                                        ;       Child Loop BB5_9 Depth 3
                                        ;         Child Loop BB5_12 Depth 4
	v_sub_u32_e32 v1, 0, v0
	v_max_i32_e32 v1, v0, v1
	v_mul_hi_u32 v2, v1, v5
	v_ashrrev_i32_e32 v4, 31, v0
	v_xor_b32_e32 v4, s55, v4
	v_mul_lo_u32 v3, v2, s62
	v_add_u32_e32 v7, 1, v2
	v_sub_u32_e32 v1, v1, v3
	v_cmp_le_u32_e32 vcc, s62, v1
	v_subrev_u32_e32 v3, s62, v1
	v_cndmask_b32_e32 v2, v2, v7, vcc
	v_cndmask_b32_e32 v1, v1, v3, vcc
	v_add_u32_e32 v3, 1, v2
	v_cmp_le_u32_e32 vcc, s62, v1
	v_cndmask_b32_e32 v1, v2, v3, vcc
	v_xor_b32_e32 v1, v1, v4
	v_sub_u32_e32 v3, v1, v4
	v_mul_lo_u32 v1, v3, s30
	s_andn2_b64 vcc, exec, s[2:3]
	v_sub_u32_e32 v7, v0, v1
	s_cbranch_vccnz .LBB5_14
; %bb.4:                                ;   in Loop: Header=BB5_3 Depth=1
	v_mul_lo_u32 v4, v3, s31
	v_mul_lo_u32 v8, v7, s44
	v_mov_b32_e32 v1, 0
	v_mov_b32_e32 v2, 0
	v_subrev_u32_e32 v4, s47, v4
	v_subrev_u32_e32 v8, s48, v8
	s_mov_b32 s64, 0
	s_mov_b64 s[34:35], s[4:5]
	s_branch .LBB5_6
.LBB5_5:                                ;   in Loop: Header=BB5_6 Depth=2
	s_add_i32 s64, s64, 1
	s_add_u32 s34, s34, s22
	s_addc_u32 s35, s35, s23
	s_cmp_eq_u32 s64, s28
	s_cbranch_scc1 .LBB5_15
.LBB5_6:                                ;   Parent Loop BB5_3 Depth=1
                                        ; =>  This Loop Header: Depth=2
                                        ;       Child Loop BB5_9 Depth 3
                                        ;         Child Loop BB5_12 Depth 4
	s_andn2_b64 vcc, exec, s[6:7]
	s_cbranch_vccnz .LBB5_5
; %bb.7:                                ;   in Loop: Header=BB5_6 Depth=2
	s_mul_i32 s0, s13, s64
	s_mul_hi_u32 s1, s12, s64
	s_add_i32 s1, s1, s0
	s_mul_i32 s0, s12, s64
	s_lshl_b64 s[0:1], s[0:1], 1
	s_add_u32 s65, s33, s0
	s_addc_u32 s66, s51, s1
	s_mov_b32 s67, 0
	s_mov_b64 s[36:37], s[34:35]
	s_branch .LBB5_9
.LBB5_8:                                ;   in Loop: Header=BB5_9 Depth=3
	s_add_i32 s67, s67, 1
	s_add_u32 s36, s36, s20
	s_addc_u32 s37, s37, s21
	s_cmp_eq_u32 s67, s49
	s_cbranch_scc1 .LBB5_5
.LBB5_9:                                ;   Parent Loop BB5_3 Depth=1
                                        ;     Parent Loop BB5_6 Depth=2
                                        ; =>    This Loop Header: Depth=3
                                        ;         Child Loop BB5_12 Depth 4
	s_andn2_b64 vcc, exec, s[14:15]
	s_cbranch_vccnz .LBB5_8
; %bb.10:                               ;   in Loop: Header=BB5_9 Depth=3
	s_mul_i32 s0, s67, s45
	v_add_u32_e32 v12, s0, v4
	v_mad_u64_u32 v[9:10], s[0:1], s10, v12, 0
	v_cmp_gt_i32_e32 vcc, 0, v12
	v_mov_b32_e32 v13, s66
	v_mad_u64_u32 v[10:11], s[0:1], s11, v12, v[10:11]
	v_cmp_le_i32_e64 s[0:1], s24, v12
	s_or_b64 s[38:39], vcc, s[0:1]
	v_lshlrev_b64 v[9:10], 1, v[9:10]
	v_mov_b32_e32 v11, v8
	v_add_co_u32_e32 v9, vcc, s65, v9
	v_addc_co_u32_e32 v10, vcc, v13, v10, vcc
	s_mov_b64 s[52:53], s[36:37]
	s_mov_b32 s68, s50
	s_branch .LBB5_12
.LBB5_11:                               ;   in Loop: Header=BB5_12 Depth=4
	s_or_b64 exec, exec, s[0:1]
	s_add_i32 s68, s68, -1
	s_add_u32 s52, s52, s18
	s_addc_u32 s53, s53, s19
	s_cmp_eq_u32 s68, 0
	v_add_u32_e32 v11, s46, v11
	s_cbranch_scc1 .LBB5_8
.LBB5_12:                               ;   Parent Loop BB5_3 Depth=1
                                        ;     Parent Loop BB5_6 Depth=2
                                        ;       Parent Loop BB5_9 Depth=3
                                        ; =>      This Inner Loop Header: Depth=4
	v_cmp_gt_i32_e32 vcc, 0, v11
	v_cmp_le_i32_e64 s[0:1], s25, v11
	s_or_b64 s[0:1], vcc, s[0:1]
	s_nor_b64 s[70:71], s[38:39], s[0:1]
	s_and_saveexec_b64 s[0:1], s[70:71]
	s_cbranch_execz .LBB5_11
; %bb.13:                               ;   in Loop: Header=BB5_12 Depth=4
	v_mad_u64_u32 v[12:13], s[70:71], s8, v11, 0
	v_mad_u64_u32 v[13:14], s[70:71], s9, v11, v[13:14]
	global_load_ushort v14, v6, s[52:53]
	v_lshlrev_b64 v[12:13], 1, v[12:13]
	v_add_co_u32_e32 v12, vcc, v9, v12
	v_addc_co_u32_e32 v13, vcc, v10, v13, vcc
	global_load_ushort v12, v[12:13], off
	s_waitcnt vmcnt(1)
	v_lshlrev_b32_e32 v14, 16, v14
	v_cvt_f64_f32_e32 v[14:15], v14
	s_waitcnt vmcnt(0)
	v_lshlrev_b32_e32 v12, 16, v12
	v_cvt_f64_f32_e32 v[12:13], v12
	v_fma_f64 v[1:2], v[12:13], v[14:15], v[1:2]
	s_branch .LBB5_11
.LBB5_14:                               ;   in Loop: Header=BB5_3 Depth=1
	v_mov_b32_e32 v1, 0
	v_mov_b32_e32 v2, 0
.LBB5_15:                               ;   in Loop: Header=BB5_3 Depth=1
	v_ashrrev_i32_e32 v8, 31, v3
	v_mul_lo_u32 v9, s59, v3
	v_mad_u64_u32 v[3:4], s[0:1], s58, v3, 0
	v_mul_lo_u32 v8, s58, v8
	s_and_b64 vcc, exec, s[16:17]
	v_add3_u32 v4, v4, v8, v9
	v_ashrrev_i32_e32 v8, 31, v7
	v_mad_u64_u32 v[3:4], s[0:1], s56, v7, v[3:4]
	v_mul_lo_u32 v7, s57, v7
	v_mul_lo_u32 v8, s56, v8
	s_mov_b64 s[0:1], -1
	v_add3_u32 v4, v7, v4, v8
	s_cbranch_vccz .LBB5_17
; %bb.16:                               ;   in Loop: Header=BB5_3 Depth=1
	v_lshlrev_b64 v[7:8], 1, v[3:4]
	v_mov_b32_e32 v9, s61
	v_add_co_u32_e32 v7, vcc, s60, v7
	v_addc_co_u32_e32 v8, vcc, v9, v8, vcc
	global_load_ushort v9, v[7:8], off
	s_waitcnt vmcnt(0)
	v_lshlrev_b32_e32 v9, 16, v9
	v_cvt_f64_f32_e32 v[9:10], v9
	v_mul_f64 v[9:10], s[42:43], v[9:10]
	v_fma_f64 v[9:10], s[40:41], v[1:2], v[9:10]
	v_cvt_f32_f64_e32 v9, v[9:10]
	v_and_b32_e32 v10, 0x7f800000, v9
	v_cmp_ne_u32_sdwa s[0:1], v9, v6 src0_sel:WORD_0 src1_sel:DWORD
	v_cmp_eq_u32_e32 vcc, s63, v10
	s_and_b64 s[0:1], vcc, s[0:1]
	v_cndmask_b32_e64 v10, 0, 1, s[0:1]
	v_or_b32_sdwa v9, v9, v10 dst_sel:DWORD dst_unused:UNUSED_PAD src0_sel:WORD_1 src1_sel:DWORD
	global_store_short v[7:8], v9, off
	s_mov_b64 s[0:1], 0
.LBB5_17:                               ;   in Loop: Header=BB5_3 Depth=1
	s_andn2_b64 vcc, exec, s[0:1]
	s_cbranch_vccnz .LBB5_2
; %bb.18:                               ;   in Loop: Header=BB5_3 Depth=1
	v_cvt_f32_f64_e32 v7, v[1:2]
	v_lshlrev_b64 v[1:2], 1, v[3:4]
	v_mov_b32_e32 v4, s61
	v_and_b32_e32 v3, 0x7f800000, v7
	v_cmp_ne_u32_sdwa s[0:1], v7, v6 src0_sel:WORD_0 src1_sel:DWORD
	v_cmp_eq_u32_e32 vcc, s63, v3
	s_and_b64 s[0:1], vcc, s[0:1]
	v_cndmask_b32_e64 v3, 0, 1, s[0:1]
	v_add_co_u32_e32 v1, vcc, s60, v1
	v_or_b32_sdwa v3, v7, v3 dst_sel:DWORD dst_unused:UNUSED_PAD src0_sel:WORD_1 src1_sel:DWORD
	v_addc_co_u32_e32 v2, vcc, v4, v2, vcc
	global_store_short v[1:2], v3, off
	s_branch .LBB5_2
.LBB5_19:
	s_endpgm
	.section	.rodata,"a",@progbits
	.p2align	6, 0x0
	.amdhsa_kernel naive_conv_ab_nonpacked_fwd_nchw_ushort_double_ushort
		.amdhsa_group_segment_fixed_size 0
		.amdhsa_private_segment_fixed_size 0
		.amdhsa_kernarg_size 480
		.amdhsa_user_sgpr_count 6
		.amdhsa_user_sgpr_private_segment_buffer 1
		.amdhsa_user_sgpr_dispatch_ptr 0
		.amdhsa_user_sgpr_queue_ptr 0
		.amdhsa_user_sgpr_kernarg_segment_ptr 1
		.amdhsa_user_sgpr_dispatch_id 0
		.amdhsa_user_sgpr_flat_scratch_init 0
		.amdhsa_user_sgpr_private_segment_size 0
		.amdhsa_uses_dynamic_stack 0
		.amdhsa_system_sgpr_private_segment_wavefront_offset 0
		.amdhsa_system_sgpr_workgroup_id_x 1
		.amdhsa_system_sgpr_workgroup_id_y 0
		.amdhsa_system_sgpr_workgroup_id_z 0
		.amdhsa_system_sgpr_workgroup_info 0
		.amdhsa_system_vgpr_workitem_id 0
		.amdhsa_next_free_vgpr 16
		.amdhsa_next_free_sgpr 72
		.amdhsa_reserve_vcc 1
		.amdhsa_reserve_flat_scratch 0
		.amdhsa_float_round_mode_32 0
		.amdhsa_float_round_mode_16_64 0
		.amdhsa_float_denorm_mode_32 3
		.amdhsa_float_denorm_mode_16_64 3
		.amdhsa_dx10_clamp 1
		.amdhsa_ieee_mode 1
		.amdhsa_fp16_overflow 0
		.amdhsa_exception_fp_ieee_invalid_op 0
		.amdhsa_exception_fp_denorm_src 0
		.amdhsa_exception_fp_ieee_div_zero 0
		.amdhsa_exception_fp_ieee_overflow 0
		.amdhsa_exception_fp_ieee_underflow 0
		.amdhsa_exception_fp_ieee_inexact 0
		.amdhsa_exception_int_div_zero 0
	.end_amdhsa_kernel
	.text
.Lfunc_end5:
	.size	naive_conv_ab_nonpacked_fwd_nchw_ushort_double_ushort, .Lfunc_end5-naive_conv_ab_nonpacked_fwd_nchw_ushort_double_ushort
                                        ; -- End function
	.set naive_conv_ab_nonpacked_fwd_nchw_ushort_double_ushort.num_vgpr, 16
	.set naive_conv_ab_nonpacked_fwd_nchw_ushort_double_ushort.num_agpr, 0
	.set naive_conv_ab_nonpacked_fwd_nchw_ushort_double_ushort.numbered_sgpr, 72
	.set naive_conv_ab_nonpacked_fwd_nchw_ushort_double_ushort.num_named_barrier, 0
	.set naive_conv_ab_nonpacked_fwd_nchw_ushort_double_ushort.private_seg_size, 0
	.set naive_conv_ab_nonpacked_fwd_nchw_ushort_double_ushort.uses_vcc, 1
	.set naive_conv_ab_nonpacked_fwd_nchw_ushort_double_ushort.uses_flat_scratch, 0
	.set naive_conv_ab_nonpacked_fwd_nchw_ushort_double_ushort.has_dyn_sized_stack, 0
	.set naive_conv_ab_nonpacked_fwd_nchw_ushort_double_ushort.has_recursion, 0
	.set naive_conv_ab_nonpacked_fwd_nchw_ushort_double_ushort.has_indirect_call, 0
	.section	.AMDGPU.csdata,"",@progbits
; Kernel info:
; codeLenInByte = 1596
; TotalNumSgprs: 76
; NumVgprs: 16
; ScratchSize: 0
; MemoryBound: 0
; FloatMode: 240
; IeeeMode: 1
; LDSByteSize: 0 bytes/workgroup (compile time only)
; SGPRBlocks: 9
; VGPRBlocks: 3
; NumSGPRsForWavesPerEU: 76
; NumVGPRsForWavesPerEU: 16
; Occupancy: 10
; WaveLimiterHint : 0
; COMPUTE_PGM_RSRC2:SCRATCH_EN: 0
; COMPUTE_PGM_RSRC2:USER_SGPR: 6
; COMPUTE_PGM_RSRC2:TRAP_HANDLER: 0
; COMPUTE_PGM_RSRC2:TGID_X_EN: 1
; COMPUTE_PGM_RSRC2:TGID_Y_EN: 0
; COMPUTE_PGM_RSRC2:TGID_Z_EN: 0
; COMPUTE_PGM_RSRC2:TIDIG_COMP_CNT: 0
	.text
	.protected	naive_conv_ab_packed_fwd_nchw_int8_t_int32_t_int8_t ; -- Begin function naive_conv_ab_packed_fwd_nchw_int8_t_int32_t_int8_t
	.globl	naive_conv_ab_packed_fwd_nchw_int8_t_int32_t_int8_t
	.p2align	8
	.type	naive_conv_ab_packed_fwd_nchw_int8_t_int32_t_int8_t,@function
naive_conv_ab_packed_fwd_nchw_int8_t_int32_t_int8_t: ; @naive_conv_ab_packed_fwd_nchw_int8_t_int32_t_int8_t
; %bb.0:
	s_load_dwordx16 s[8:23], s[4:5], 0xa0
	s_abs_i32 s2, s6
	s_waitcnt lgkmcnt(0)
	s_abs_i32 s0, s11
	v_cvt_f32_u32_e32 v1, s0
	s_sub_i32 s1, 0, s0
	s_mul_i32 s34, s11, s10
	s_mul_i32 s33, s14, s13
	v_rcp_iflag_f32_e32 v1, v1
	v_cmp_gt_i32_e32 vcc, s33, v0
	v_mul_f32_e32 v1, 0x4f7ffffe, v1
	v_cvt_u32_f32_e32 v1, v1
	v_readfirstlane_b32 s3, v1
	s_mul_i32 s1, s1, s3
	s_mul_hi_u32 s1, s3, s1
	s_add_i32 s3, s3, s1
	s_mul_hi_u32 s1, s2, s3
	s_mul_i32 s3, s1, s0
	s_sub_i32 s3, s2, s3
	s_add_i32 s7, s1, 1
	s_sub_i32 s24, s3, s0
	s_cmp_ge_u32 s3, s0
	s_cselect_b32 s1, s7, s1
	s_cselect_b32 s3, s24, s3
	s_add_i32 s7, s1, 1
	s_cmp_ge_u32 s3, s0
	s_cselect_b32 s35, s7, s1
	s_abs_i32 s7, s10
	s_abs_i32 s3, s34
	v_cvt_f32_u32_e32 v1, s7
	v_cvt_f32_u32_e32 v2, s3
	v_rcp_iflag_f32_e32 v1, v1
	v_rcp_iflag_f32_e32 v2, v2
	v_mul_f32_e32 v1, 0x4f7ffffe, v1
	v_mul_f32_e32 v2, 0x4f7ffffe, v2
	v_cvt_u32_f32_e32 v1, v1
	v_cvt_u32_f32_e32 v2, v2
	v_readfirstlane_b32 s36, v1
	v_readfirstlane_b32 s10, v2
	s_and_saveexec_b64 s[0:1], vcc
	s_cbranch_execz .LBB6_16
; %bb.1:
	s_ashr_i32 s37, s6, 31
	s_ashr_i32 s38, s11, 31
	s_xor_b32 s38, s37, s38
	s_sub_i32 s40, 0, s7
	s_xor_b32 s35, s35, s38
	s_mul_i32 s40, s40, s36
	s_sub_i32 s35, s35, s38
	s_mul_hi_u32 s40, s36, s40
	s_abs_i32 s39, s35
	s_add_i32 s36, s36, s40
	s_mul_hi_u32 s36, s39, s36
	s_sub_i32 s40, 0, s3
	s_ashr_i32 s38, s35, 31
	s_mul_i32 s40, s40, s10
	s_mul_i32 s35, s35, s11
	;; [unrolled: 1-line block ×3, first 2 shown]
	s_mul_hi_u32 s40, s10, s40
	s_sub_i32 s6, s6, s35
	s_sub_i32 s35, s39, s36
	s_ashr_i32 s34, s34, 31
	s_add_i32 s10, s10, s40
	s_sub_i32 s36, s35, s7
	s_cmp_ge_u32 s35, s7
	s_cselect_b32 s35, s36, s35
	s_sub_i32 s36, s35, s7
	s_mul_hi_u32 s10, s2, s10
	s_cmp_ge_u32 s35, s7
	s_cselect_b32 s7, s36, s35
	s_mul_i32 s35, s10, s3
	s_xor_b32 s7, s7, s38
	s_sub_i32 s2, s2, s35
	s_sub_i32 s7, s7, s38
	s_xor_b32 s34, s37, s34
	s_add_i32 s35, s10, 1
	s_sub_i32 s36, s2, s3
	s_cmp_ge_u32 s2, s3
	s_cselect_b32 s10, s35, s10
	s_cselect_b32 s2, s36, s2
	s_add_i32 s35, s10, 1
	s_cmp_ge_u32 s2, s3
	s_cselect_b32 s2, s35, s10
	s_xor_b32 s2, s2, s34
	s_mul_i32 s42, s23, s11
	s_mul_i32 s23, s23, s12
	s_sub_i32 s10, s2, s34
	s_mul_hi_i32 s2, s7, s23
	s_mul_i32 s3, s7, s23
	s_ashr_i32 s23, s8, 31
	s_ashr_i32 s40, s9, 31
	;; [unrolled: 1-line block ×3, first 2 shown]
	s_mul_i32 s35, s10, s12
	s_mul_hi_i32 s34, s10, s12
	s_add_u32 s3, s35, s3
	s_load_dwordx8 s[24:31], s[4:5], 0x0
	s_load_dwordx2 s[0:1], s[4:5], 0x20
	s_addc_u32 s2, s34, s2
	s_mul_i32 s35, s9, s8
	s_mul_hi_i32 s34, s9, s8
	s_mul_i32 s2, s35, s2
	s_mul_hi_u32 s37, s35, s3
	s_add_i32 s2, s37, s2
	s_mul_i32 s34, s34, s3
	s_add_i32 s34, s2, s34
	s_mul_i32 s35, s35, s3
	s_waitcnt lgkmcnt(0)
	s_add_u32 s2, s24, s35
	s_addc_u32 s3, s25, s34
	s_mul_hi_i32 s24, s10, s11
	s_mul_i32 s10, s10, s11
	s_ashr_i32 s41, s22, 31
	s_ashr_i32 s11, s6, 31
	s_add_u32 s37, s10, s6
	s_addc_u32 s38, s24, s11
	s_mul_hi_i32 s6, s7, s42
	s_mul_i32 s7, s7, s42
	s_ashr_i32 s42, s14, 31
	s_add_u32 s7, s37, s7
	s_addc_u32 s6, s38, s6
	s_mul_hi_i32 s10, s14, s13
	s_mul_i32 s6, s33, s6
	s_mul_hi_u32 s11, s33, s7
	s_add_i32 s6, s11, s6
	s_mul_i32 s10, s10, s7
	s_add_i32 s6, s6, s10
	s_mul_i32 s7, s33, s7
	s_load_dword s39, s[4:5], 0xec
	s_add_u32 s4, s0, s7
	s_addc_u32 s5, s1, s6
	s_cmp_gt_i32 s12, 0
	s_cselect_b64 s[6:7], -1, 0
	s_cmp_gt_i32 s21, 0
	s_cselect_b64 s[10:11], -1, 0
	;; [unrolled: 2-line block ×3, first 2 shown]
	s_abs_i32 s13, s14
	v_cvt_f32_u32_e32 v1, s13
	v_cmp_neq_f64_e64 s[0:1], s[28:29], 1.0
	v_cmp_neq_f64_e64 s[34:35], s[30:31], 0
	s_mov_b32 s43, s8
	v_rcp_iflag_f32_e32 v1, v1
	s_sub_i32 s8, 0, s13
	s_mul_i32 s47, s22, s21
	s_mov_b32 s45, s21
	v_mul_f32_e32 v1, 0x4f7ffffe, v1
	v_cvt_u32_f32_e32 v1, v1
	s_or_b64 s[34:35], s[0:1], s[34:35]
	s_mul_i32 s0, s47, s38
	s_mul_hi_u32 s1, s47, s37
	v_mul_lo_u32 v2, s8, v1
	s_mul_hi_i32 s21, s22, s21
	s_add_i32 s0, s1, s0
	s_mul_i32 s1, s21, s37
	s_add_i32 s0, s0, s1
	s_mul_i32 s1, s47, s37
	v_mul_hi_u32 v2, v1, v2
	v_cvt_i32_f64_e32 v5, s[28:29]
	s_mul_i32 s28, s1, s36
	s_mul_hi_u32 s29, s1, s12
	v_cvt_i32_f64_e32 v6, s[30:31]
	s_add_i32 s28, s29, s28
	s_mul_i32 s0, s0, s12
	s_waitcnt lgkmcnt(0)
	s_and_b32 s46, s39, 0xffff
	s_add_i32 s28, s28, s0
	s_mul_i32 s1, s1, s12
	s_add_u32 s26, s26, s1
	s_mov_b32 s44, s9
	s_mov_b64 s[8:9], 0
	v_add_u32_e32 v7, v1, v2
	v_mov_b32_e32 v8, 0
	s_addc_u32 s27, s27, s28
	s_branch .LBB6_3
.LBB6_2:                                ;   in Loop: Header=BB6_3 Depth=1
	v_add_u32_e32 v0, s46, v0
	v_cmp_le_i32_e32 vcc, s33, v0
	s_or_b64 s[8:9], vcc, s[8:9]
	global_store_byte v[3:4], v1, off
	s_andn2_b64 exec, exec, s[8:9]
	s_cbranch_execz .LBB6_16
.LBB6_3:                                ; =>This Loop Header: Depth=1
                                        ;     Child Loop BB6_6 Depth 2
                                        ;       Child Loop BB6_9 Depth 3
                                        ;         Child Loop BB6_12 Depth 4
	v_sub_u32_e32 v1, 0, v0
	v_max_i32_e32 v1, v0, v1
	v_mul_hi_u32 v2, v1, v7
	v_ashrrev_i32_e32 v4, 31, v0
	v_xor_b32_e32 v4, s42, v4
	v_mul_lo_u32 v3, v2, s13
	v_add_u32_e32 v9, 1, v2
	v_sub_u32_e32 v1, v1, v3
	v_cmp_le_u32_e32 vcc, s13, v1
	v_subrev_u32_e32 v3, s13, v1
	v_cndmask_b32_e32 v2, v2, v9, vcc
	v_cndmask_b32_e32 v1, v1, v3, vcc
	v_add_u32_e32 v3, 1, v2
	v_cmp_le_u32_e32 vcc, s13, v1
	v_cndmask_b32_e32 v1, v2, v3, vcc
	v_xor_b32_e32 v1, v1, v4
	v_sub_u32_e32 v9, v1, v4
	v_mul_lo_u32 v1, v9, s14
	s_andn2_b64 vcc, exec, s[6:7]
	v_sub_u32_e32 v4, v0, v1
	v_mov_b32_e32 v1, 0
	s_cbranch_vccnz .LBB6_14
; %bb.4:                                ;   in Loop: Header=BB6_3 Depth=1
	v_mul_lo_u32 v1, v9, s15
	v_mul_lo_u32 v2, v4, s16
	s_mov_b32 s48, 0
	s_mov_b64 s[28:29], s[26:27]
	v_subrev_u32_e32 v10, s19, v1
	v_subrev_u32_e32 v11, s20, v2
	v_mov_b32_e32 v1, 0
	s_branch .LBB6_6
.LBB6_5:                                ;   in Loop: Header=BB6_6 Depth=2
	s_add_i32 s48, s48, 1
	s_add_u32 s28, s28, s47
	s_addc_u32 s29, s29, s21
	s_cmp_eq_u32 s48, s12
	s_cbranch_scc1 .LBB6_14
.LBB6_6:                                ;   Parent Loop BB6_3 Depth=1
                                        ; =>  This Loop Header: Depth=2
                                        ;       Child Loop BB6_9 Depth 3
                                        ;         Child Loop BB6_12 Depth 4
	s_andn2_b64 vcc, exec, s[10:11]
	s_cbranch_vccnz .LBB6_5
; %bb.7:                                ;   in Loop: Header=BB6_6 Depth=2
	s_mul_i32 s0, s48, s23
	s_mul_hi_u32 s1, s48, s43
	s_add_i32 s49, s1, s0
	s_mul_i32 s50, s48, s43
	s_mov_b32 s51, 0
	s_mov_b64 s[30:31], s[28:29]
	s_branch .LBB6_9
.LBB6_8:                                ;   in Loop: Header=BB6_9 Depth=3
	s_add_i32 s51, s51, 1
	s_add_u32 s30, s30, s22
	s_addc_u32 s31, s31, s41
	s_cmp_eq_u32 s51, s45
	s_cbranch_scc1 .LBB6_5
.LBB6_9:                                ;   Parent Loop BB6_3 Depth=1
                                        ;     Parent Loop BB6_6 Depth=2
                                        ; =>    This Loop Header: Depth=3
                                        ;         Child Loop BB6_12 Depth 4
	s_andn2_b64 vcc, exec, s[24:25]
	s_cbranch_vccnz .LBB6_8
; %bb.10:                               ;   in Loop: Header=BB6_9 Depth=3
	s_mul_i32 s0, s51, s17
	v_add_u32_e32 v12, s0, v10
	v_mov_b32_e32 v2, s49
	v_add_co_u32_e32 v13, vcc, s50, v12
	v_addc_co_u32_e32 v2, vcc, 0, v2, vcc
	v_mul_lo_u32 v15, v2, s44
	v_mov_b32_e32 v2, s2
	v_mov_b32_e32 v3, s3
	v_mul_lo_u32 v14, v13, s40
	v_mad_u64_u32 v[2:3], s[0:1], v13, s44, v[2:3]
	v_cmp_gt_i32_e32 vcc, 0, v12
	v_cmp_le_i32_e64 s[0:1], s43, v12
	s_or_b64 s[36:37], vcc, s[0:1]
	v_add3_u32 v3, v15, v3, v14
	v_mov_b32_e32 v12, v11
	s_mov_b64 s[38:39], s[30:31]
	s_mov_b32 s52, s22
	s_branch .LBB6_12
.LBB6_11:                               ;   in Loop: Header=BB6_12 Depth=4
	s_or_b64 exec, exec, s[0:1]
	s_add_i32 s52, s52, -1
	s_add_u32 s38, s38, 1
	s_addc_u32 s39, s39, 0
	s_cmp_eq_u32 s52, 0
	v_add_u32_e32 v12, s18, v12
	s_cbranch_scc1 .LBB6_8
.LBB6_12:                               ;   Parent Loop BB6_3 Depth=1
                                        ;     Parent Loop BB6_6 Depth=2
                                        ;       Parent Loop BB6_9 Depth=3
                                        ; =>      This Inner Loop Header: Depth=4
	v_cmp_gt_i32_e32 vcc, 0, v12
	v_cmp_le_i32_e64 s[0:1], s44, v12
	s_or_b64 s[0:1], vcc, s[0:1]
	s_nor_b64 s[54:55], s[36:37], s[0:1]
	s_and_saveexec_b64 s[0:1], s[54:55]
	s_cbranch_execz .LBB6_11
; %bb.13:                               ;   in Loop: Header=BB6_12 Depth=4
	v_add_co_u32_e32 v13, vcc, v2, v12
	v_addc_co_u32_e32 v14, vcc, 0, v3, vcc
	global_load_ubyte v13, v[13:14], off
	s_nop 0
	global_load_ubyte v14, v8, s[38:39]
	s_waitcnt vmcnt(0)
	v_mad_u32_u24 v1, v14, v13, v1
	s_branch .LBB6_11
.LBB6_14:                               ;   in Loop: Header=BB6_3 Depth=1
	v_mov_b32_e32 v2, s4
	v_mov_b32_e32 v3, s5
	v_mad_i64_i32 v[9:10], s[0:1], v9, s14, v[2:3]
	v_ashrrev_i32_e32 v11, 31, v4
	s_andn2_b64 vcc, exec, s[34:35]
	v_add_co_u32_e64 v3, s[0:1], v9, v4
	v_addc_co_u32_e64 v4, s[0:1], v10, v11, s[0:1]
	s_cbranch_vccnz .LBB6_2
; %bb.15:                               ;   in Loop: Header=BB6_3 Depth=1
	global_load_ubyte v2, v[3:4], off
	v_mul_lo_u32 v1, v1, v5
	s_waitcnt vmcnt(0)
	v_mad_u64_u32 v[1:2], s[0:1], v2, v6, v[1:2]
	s_branch .LBB6_2
.LBB6_16:
	s_endpgm
	.section	.rodata,"a",@progbits
	.p2align	6, 0x0
	.amdhsa_kernel naive_conv_ab_packed_fwd_nchw_int8_t_int32_t_int8_t
		.amdhsa_group_segment_fixed_size 0
		.amdhsa_private_segment_fixed_size 0
		.amdhsa_kernarg_size 480
		.amdhsa_user_sgpr_count 6
		.amdhsa_user_sgpr_private_segment_buffer 1
		.amdhsa_user_sgpr_dispatch_ptr 0
		.amdhsa_user_sgpr_queue_ptr 0
		.amdhsa_user_sgpr_kernarg_segment_ptr 1
		.amdhsa_user_sgpr_dispatch_id 0
		.amdhsa_user_sgpr_flat_scratch_init 0
		.amdhsa_user_sgpr_private_segment_size 0
		.amdhsa_uses_dynamic_stack 0
		.amdhsa_system_sgpr_private_segment_wavefront_offset 0
		.amdhsa_system_sgpr_workgroup_id_x 1
		.amdhsa_system_sgpr_workgroup_id_y 0
		.amdhsa_system_sgpr_workgroup_id_z 0
		.amdhsa_system_sgpr_workgroup_info 0
		.amdhsa_system_vgpr_workitem_id 0
		.amdhsa_next_free_vgpr 16
		.amdhsa_next_free_sgpr 56
		.amdhsa_reserve_vcc 1
		.amdhsa_reserve_flat_scratch 0
		.amdhsa_float_round_mode_32 0
		.amdhsa_float_round_mode_16_64 0
		.amdhsa_float_denorm_mode_32 3
		.amdhsa_float_denorm_mode_16_64 3
		.amdhsa_dx10_clamp 1
		.amdhsa_ieee_mode 1
		.amdhsa_fp16_overflow 0
		.amdhsa_exception_fp_ieee_invalid_op 0
		.amdhsa_exception_fp_denorm_src 0
		.amdhsa_exception_fp_ieee_div_zero 0
		.amdhsa_exception_fp_ieee_overflow 0
		.amdhsa_exception_fp_ieee_underflow 0
		.amdhsa_exception_fp_ieee_inexact 0
		.amdhsa_exception_int_div_zero 0
	.end_amdhsa_kernel
	.text
.Lfunc_end6:
	.size	naive_conv_ab_packed_fwd_nchw_int8_t_int32_t_int8_t, .Lfunc_end6-naive_conv_ab_packed_fwd_nchw_int8_t_int32_t_int8_t
                                        ; -- End function
	.set naive_conv_ab_packed_fwd_nchw_int8_t_int32_t_int8_t.num_vgpr, 16
	.set naive_conv_ab_packed_fwd_nchw_int8_t_int32_t_int8_t.num_agpr, 0
	.set naive_conv_ab_packed_fwd_nchw_int8_t_int32_t_int8_t.numbered_sgpr, 56
	.set naive_conv_ab_packed_fwd_nchw_int8_t_int32_t_int8_t.num_named_barrier, 0
	.set naive_conv_ab_packed_fwd_nchw_int8_t_int32_t_int8_t.private_seg_size, 0
	.set naive_conv_ab_packed_fwd_nchw_int8_t_int32_t_int8_t.uses_vcc, 1
	.set naive_conv_ab_packed_fwd_nchw_int8_t_int32_t_int8_t.uses_flat_scratch, 0
	.set naive_conv_ab_packed_fwd_nchw_int8_t_int32_t_int8_t.has_dyn_sized_stack, 0
	.set naive_conv_ab_packed_fwd_nchw_int8_t_int32_t_int8_t.has_recursion, 0
	.set naive_conv_ab_packed_fwd_nchw_int8_t_int32_t_int8_t.has_indirect_call, 0
	.section	.AMDGPU.csdata,"",@progbits
; Kernel info:
; codeLenInByte = 1268
; TotalNumSgprs: 60
; NumVgprs: 16
; ScratchSize: 0
; MemoryBound: 0
; FloatMode: 240
; IeeeMode: 1
; LDSByteSize: 0 bytes/workgroup (compile time only)
; SGPRBlocks: 7
; VGPRBlocks: 3
; NumSGPRsForWavesPerEU: 60
; NumVGPRsForWavesPerEU: 16
; Occupancy: 10
; WaveLimiterHint : 0
; COMPUTE_PGM_RSRC2:SCRATCH_EN: 0
; COMPUTE_PGM_RSRC2:USER_SGPR: 6
; COMPUTE_PGM_RSRC2:TRAP_HANDLER: 0
; COMPUTE_PGM_RSRC2:TGID_X_EN: 1
; COMPUTE_PGM_RSRC2:TGID_Y_EN: 0
; COMPUTE_PGM_RSRC2:TGID_Z_EN: 0
; COMPUTE_PGM_RSRC2:TIDIG_COMP_CNT: 0
	.text
	.protected	naive_conv_ab_nonpacked_fwd_nchw_int8_t_int32_t_int8_t ; -- Begin function naive_conv_ab_nonpacked_fwd_nchw_int8_t_int32_t_int8_t
	.globl	naive_conv_ab_nonpacked_fwd_nchw_int8_t_int32_t_int8_t
	.p2align	8
	.type	naive_conv_ab_nonpacked_fwd_nchw_int8_t_int32_t_int8_t,@function
naive_conv_ab_nonpacked_fwd_nchw_int8_t_int32_t_int8_t: ; @naive_conv_ab_nonpacked_fwd_nchw_int8_t_int32_t_int8_t
; %bb.0:
	s_load_dwordx8 s[24:31], s[4:5], 0xa0
	s_abs_i32 s7, s6
	s_waitcnt lgkmcnt(0)
	s_abs_i32 s1, s27
	v_cvt_f32_u32_e32 v1, s1
	s_sub_i32 s2, 0, s1
	s_mul_i32 s0, s27, s26
	s_mul_i32 s29, s30, s29
	v_rcp_iflag_f32_e32 v1, v1
	v_cmp_gt_i32_e32 vcc, s29, v0
	v_mul_f32_e32 v1, 0x4f7ffffe, v1
	v_cvt_u32_f32_e32 v1, v1
	v_readfirstlane_b32 s3, v1
	s_mul_i32 s2, s2, s3
	s_mul_hi_u32 s2, s3, s2
	s_add_i32 s3, s3, s2
	s_mul_hi_u32 s2, s7, s3
	s_mul_i32 s3, s2, s1
	s_sub_i32 s3, s7, s3
	s_add_i32 s8, s2, 1
	s_sub_i32 s9, s3, s1
	s_cmp_ge_u32 s3, s1
	s_cselect_b32 s2, s8, s2
	s_cselect_b32 s3, s9, s3
	s_add_i32 s8, s2, 1
	s_cmp_ge_u32 s3, s1
	s_cselect_b32 s1, s8, s2
	s_abs_i32 s33, s26
	s_abs_i32 s26, s0
	v_cvt_f32_u32_e32 v1, s33
	v_cvt_f32_u32_e32 v2, s26
	v_rcp_iflag_f32_e32 v1, v1
	v_rcp_iflag_f32_e32 v2, v2
	v_mul_f32_e32 v1, 0x4f7ffffe, v1
	v_mul_f32_e32 v2, 0x4f7ffffe, v2
	v_cvt_u32_f32_e32 v1, v1
	v_cvt_u32_f32_e32 v2, v2
	v_readfirstlane_b32 s3, v1
	v_readfirstlane_b32 s2, v2
	s_and_saveexec_b64 s[8:9], vcc
	s_cbranch_execz .LBB7_16
; %bb.1:
	s_ashr_i32 s44, s6, 31
	s_ashr_i32 s8, s27, 31
	s_xor_b32 s8, s44, s8
	s_xor_b32 s1, s1, s8
	s_sub_i32 s45, s1, s8
	s_sub_i32 s1, 0, s33
	s_mul_i32 s1, s1, s3
	s_mul_hi_u32 s1, s3, s1
	s_abs_i32 s47, s45
	s_add_i32 s3, s3, s1
	s_mul_hi_u32 s48, s47, s3
	s_ashr_i32 s49, s0, 31
	s_sub_i32 s0, 0, s26
	s_ashr_i32 s46, s45, 31
	s_mul_i32 s0, s0, s2
	s_mul_i32 s45, s45, s27
	;; [unrolled: 1-line block ×3, first 2 shown]
	s_mul_hi_u32 s0, s2, s0
	s_sub_i32 s61, s6, s45
	s_sub_i32 s6, s47, s48
	s_add_i32 s2, s2, s0
	s_sub_i32 s27, s6, s33
	s_cmp_ge_u32 s6, s33
	s_cselect_b32 s6, s27, s6
	s_sub_i32 s27, s6, s33
	s_mul_hi_u32 s50, s7, s2
	s_cmp_ge_u32 s6, s33
	s_cselect_b32 s6, s27, s6
	s_mul_i32 s33, s50, s26
	s_xor_b32 s6, s6, s46
	s_sub_i32 s7, s7, s33
	s_sub_i32 s27, s6, s46
	s_xor_b32 s6, s44, s49
	s_add_i32 s33, s50, 1
	s_sub_i32 s44, s7, s26
	s_cmp_ge_u32 s7, s26
	s_cselect_b32 s33, s33, s50
	s_cselect_b32 s7, s44, s7
	s_add_i32 s44, s33, 1
	s_cmp_ge_u32 s7, s26
	s_cselect_b32 s7, s44, s33
	s_load_dwordx16 s[8:23], s[4:5], 0x28
	s_load_dwordx2 s[34:35], s[4:5], 0x98
	s_load_dwordx4 s[0:3], s[4:5], 0x88
	s_load_dwordx8 s[36:43], s[4:5], 0x68
	s_xor_b32 s7, s7, s6
	s_sub_i32 s62, s7, s6
	s_ashr_i32 s6, s27, 31
	s_waitcnt lgkmcnt(0)
	s_mul_i32 s7, s16, s6
	s_mul_hi_u32 s26, s16, s27
	s_load_dwordx8 s[52:59], s[4:5], 0x0
	s_add_i32 s7, s26, s7
	s_mul_i32 s17, s17, s27
	s_add_i32 s7, s7, s17
	s_ashr_i32 s17, s62, 31
	s_mul_i32 s26, s14, s17
	s_mul_hi_u32 s33, s14, s62
	s_add_i32 s26, s33, s26
	s_mul_i32 s15, s15, s62
	s_mul_i32 s16, s16, s27
	s_add_i32 s26, s26, s15
	s_waitcnt lgkmcnt(0)
	s_add_u32 s15, s52, s16
	s_mul_i32 s14, s14, s62
	s_addc_u32 s7, s53, s7
	s_add_u32 s33, s15, s14
	s_addc_u32 s60, s7, s26
	s_mul_i32 s7, s38, s17
	s_mul_hi_u32 s14, s38, s62
	s_add_i32 s7, s14, s7
	s_mul_i32 s14, s39, s62
	s_add_i32 s39, s7, s14
	s_ashr_i32 s14, s61, 31
	s_mul_i32 s7, s36, s14
	s_mul_hi_u32 s15, s36, s61
	s_add_i32 s7, s15, s7
	s_mul_i32 s15, s37, s61
	s_add_i32 s37, s7, s15
	s_mul_i32 s6, s34, s6
	s_mul_hi_u32 s7, s34, s27
	s_add_i32 s6, s7, s6
	s_mul_i32 s7, s35, s27
	s_add_i32 s15, s6, s7
	s_load_dwordx2 s[6:7], s[4:5], 0x20
	s_mul_i32 s17, s2, s17
	s_mul_hi_u32 s26, s2, s62
	s_add_i32 s17, s26, s17
	s_mul_i32 s3, s3, s62
	s_add_i32 s17, s17, s3
	s_mul_i32 s3, s0, s14
	s_mul_hi_u32 s14, s0, s61
	s_add_i32 s3, s14, s3
	s_mul_i32 s1, s1, s61
	s_mul_i32 s16, s34, s27
	s_add_i32 s3, s3, s1
	s_waitcnt lgkmcnt(0)
	s_add_u32 s1, s6, s16
	s_mul_i32 s2, s2, s62
	s_addc_u32 s6, s7, s15
	s_add_u32 s1, s1, s2
	s_mul_i32 s0, s0, s61
	s_addc_u32 s6, s6, s17
	s_add_u32 s2, s1, s0
	v_cmp_neq_f64_e64 s[0:1], s[56:57], 1.0
	v_cmp_neq_f64_e64 s[26:27], s[58:59], 0
	s_load_dwordx8 s[44:51], s[4:5], 0xc0
	s_addc_u32 s3, s6, s3
	s_cmp_gt_i32 s28, 0
	s_cselect_b64 s[6:7], -1, 0
	v_cvt_i32_f64_e32 v5, s[56:57]
	s_waitcnt lgkmcnt(0)
	s_cmp_gt_i32 s49, 0
	s_cselect_b64 s[14:15], -1, 0
	s_cmp_gt_i32 s50, 0
	s_cselect_b64 s[16:17], -1, 0
	s_or_b64 s[26:27], s[0:1], s[26:27]
	s_mul_i32 s1, s38, s62
	s_abs_i32 s62, s30
	v_cvt_f32_u32_e32 v1, s62
	s_load_dword s0, s[4:5], 0xec
	s_mul_i32 s4, s36, s61
	s_ashr_i32 s61, s30, 31
	v_rcp_iflag_f32_e32 v1, v1
	v_cvt_i32_f64_e32 v6, s[58:59]
	s_waitcnt lgkmcnt(0)
	s_and_b32 s51, s0, 0xffff
	s_sub_i32 s0, 0, s62
	v_mul_f32_e32 v1, 0x4f7ffffe, v1
	v_cvt_u32_f32_e32 v1, v1
	s_add_u32 s1, s4, s1
	s_addc_u32 s5, s37, s39
	s_add_u32 s4, s54, s1
	v_mul_lo_u32 v2, s0, v1
	s_addc_u32 s5, s55, s5
	s_mov_b64 s[34:35], 0
	v_mov_b32_e32 v8, 0
	v_mul_hi_u32 v2, v1, v2
	v_add_u32_e32 v7, v1, v2
	s_branch .LBB7_3
.LBB7_2:                                ;   in Loop: Header=BB7_3 Depth=1
	v_add_u32_e32 v0, s51, v0
	v_cmp_le_i32_e32 vcc, s29, v0
	s_or_b64 s[34:35], vcc, s[34:35]
	global_store_byte v[3:4], v1, off
	s_andn2_b64 exec, exec, s[34:35]
	s_cbranch_execz .LBB7_16
.LBB7_3:                                ; =>This Loop Header: Depth=1
                                        ;     Child Loop BB7_6 Depth 2
                                        ;       Child Loop BB7_9 Depth 3
                                        ;         Child Loop BB7_12 Depth 4
	v_sub_u32_e32 v1, 0, v0
	v_max_i32_e32 v1, v0, v1
	v_mul_hi_u32 v2, v1, v7
	v_ashrrev_i32_e32 v4, 31, v0
	v_xor_b32_e32 v4, s61, v4
	v_mul_lo_u32 v3, v2, s62
	v_add_u32_e32 v9, 1, v2
	v_sub_u32_e32 v1, v1, v3
	v_cmp_le_u32_e32 vcc, s62, v1
	v_subrev_u32_e32 v3, s62, v1
	v_cndmask_b32_e32 v2, v2, v9, vcc
	v_cndmask_b32_e32 v1, v1, v3, vcc
	v_add_u32_e32 v3, 1, v2
	v_cmp_le_u32_e32 vcc, s62, v1
	v_cndmask_b32_e32 v1, v2, v3, vcc
	v_xor_b32_e32 v1, v1, v4
	v_sub_u32_e32 v9, v1, v4
	v_mul_lo_u32 v1, v9, s30
	s_andn2_b64 vcc, exec, s[6:7]
	v_sub_u32_e32 v4, v0, v1
	v_mov_b32_e32 v1, 0
	s_cbranch_vccnz .LBB7_14
; %bb.4:                                ;   in Loop: Header=BB7_3 Depth=1
	v_mul_lo_u32 v1, v9, s31
	v_mul_lo_u32 v2, v4, s44
	s_mov_b32 s58, 0
	s_mov_b64 s[36:37], s[4:5]
	v_subrev_u32_e32 v10, s47, v1
	v_subrev_u32_e32 v11, s48, v2
	v_mov_b32_e32 v1, 0
	s_branch .LBB7_6
.LBB7_5:                                ;   in Loop: Header=BB7_6 Depth=2
	s_add_i32 s58, s58, 1
	s_add_u32 s36, s36, s22
	s_addc_u32 s37, s37, s23
	s_cmp_eq_u32 s58, s28
	s_cbranch_scc1 .LBB7_14
.LBB7_6:                                ;   Parent Loop BB7_3 Depth=1
                                        ; =>  This Loop Header: Depth=2
                                        ;       Child Loop BB7_9 Depth 3
                                        ;         Child Loop BB7_12 Depth 4
	s_andn2_b64 vcc, exec, s[14:15]
	s_cbranch_vccnz .LBB7_5
; %bb.7:                                ;   in Loop: Header=BB7_6 Depth=2
	s_mul_i32 s0, s13, s58
	s_mul_hi_u32 s1, s12, s58
	s_add_i32 s1, s1, s0
	s_mul_i32 s0, s12, s58
	s_add_u32 s38, s33, s0
	s_addc_u32 s39, s60, s1
	s_mov_b32 s59, 0
	s_mov_b64 s[52:53], s[36:37]
	s_branch .LBB7_9
.LBB7_8:                                ;   in Loop: Header=BB7_9 Depth=3
	s_add_i32 s59, s59, 1
	s_add_u32 s52, s52, s20
	s_addc_u32 s53, s53, s21
	s_cmp_eq_u32 s59, s49
	s_cbranch_scc1 .LBB7_5
.LBB7_9:                                ;   Parent Loop BB7_3 Depth=1
                                        ;     Parent Loop BB7_6 Depth=2
                                        ; =>    This Loop Header: Depth=3
                                        ;         Child Loop BB7_12 Depth 4
	s_andn2_b64 vcc, exec, s[16:17]
	s_cbranch_vccnz .LBB7_8
; %bb.10:                               ;   in Loop: Header=BB7_9 Depth=3
	s_mul_i32 s0, s59, s45
	v_mov_b32_e32 v2, s38
	v_add_u32_e32 v14, s0, v10
	v_mov_b32_e32 v3, s39
	v_mad_u64_u32 v[2:3], s[0:1], s10, v14, v[2:3]
	v_cmp_gt_i32_e32 vcc, 0, v14
	s_mov_b64 s[56:57], s[52:53]
	v_mad_u64_u32 v[12:13], s[0:1], s11, v14, v[3:4]
	v_cmp_le_i32_e64 s[0:1], s24, v14
	s_or_b64 s[54:55], vcc, s[0:1]
	v_mov_b32_e32 v3, v12
	v_mov_b32_e32 v12, v11
	s_mov_b32 s63, s50
	s_branch .LBB7_12
.LBB7_11:                               ;   in Loop: Header=BB7_12 Depth=4
	s_or_b64 exec, exec, s[0:1]
	s_add_i32 s63, s63, -1
	s_add_u32 s56, s56, s18
	s_addc_u32 s57, s57, s19
	s_cmp_eq_u32 s63, 0
	v_add_u32_e32 v12, s46, v12
	s_cbranch_scc1 .LBB7_8
.LBB7_12:                               ;   Parent Loop BB7_3 Depth=1
                                        ;     Parent Loop BB7_6 Depth=2
                                        ;       Parent Loop BB7_9 Depth=3
                                        ; =>      This Inner Loop Header: Depth=4
	v_cmp_gt_i32_e32 vcc, 0, v12
	v_cmp_le_i32_e64 s[0:1], s25, v12
	s_or_b64 s[0:1], vcc, s[0:1]
	s_nor_b64 s[64:65], s[54:55], s[0:1]
	s_and_saveexec_b64 s[0:1], s[64:65]
	s_cbranch_execz .LBB7_11
; %bb.13:                               ;   in Loop: Header=BB7_12 Depth=4
	v_mad_u64_u32 v[13:14], s[64:65], s8, v12, v[2:3]
	v_mad_u64_u32 v[14:15], s[64:65], s9, v12, v[14:15]
	global_load_ubyte v13, v[13:14], off
	s_nop 0
	global_load_ubyte v14, v8, s[56:57]
	s_waitcnt vmcnt(0)
	v_mad_u32_u24 v1, v14, v13, v1
	s_branch .LBB7_11
.LBB7_14:                               ;   in Loop: Header=BB7_3 Depth=1
	v_mov_b32_e32 v2, s2
	v_ashrrev_i32_e32 v10, 31, v4
	v_mov_b32_e32 v3, s3
	v_mad_u64_u32 v[2:3], s[0:1], s40, v4, v[2:3]
	v_mul_lo_u32 v4, s41, v4
	v_mul_lo_u32 v10, s40, v10
	v_ashrrev_i32_e32 v11, 31, v9
	s_andn2_b64 vcc, exec, s[26:27]
	v_add3_u32 v3, v4, v3, v10
	v_mad_u64_u32 v[3:4], s[0:1], s42, v9, v[2:3]
	v_mul_lo_u32 v2, s43, v9
	v_mul_lo_u32 v9, s42, v11
	v_add3_u32 v4, v2, v4, v9
	s_cbranch_vccnz .LBB7_2
; %bb.15:                               ;   in Loop: Header=BB7_3 Depth=1
	global_load_ubyte v2, v[3:4], off
	v_mul_lo_u32 v1, v1, v5
	s_waitcnt vmcnt(0)
	v_mad_u64_u32 v[1:2], s[0:1], v2, v6, v[1:2]
	s_branch .LBB7_2
.LBB7_16:
	s_endpgm
	.section	.rodata,"a",@progbits
	.p2align	6, 0x0
	.amdhsa_kernel naive_conv_ab_nonpacked_fwd_nchw_int8_t_int32_t_int8_t
		.amdhsa_group_segment_fixed_size 0
		.amdhsa_private_segment_fixed_size 0
		.amdhsa_kernarg_size 480
		.amdhsa_user_sgpr_count 6
		.amdhsa_user_sgpr_private_segment_buffer 1
		.amdhsa_user_sgpr_dispatch_ptr 0
		.amdhsa_user_sgpr_queue_ptr 0
		.amdhsa_user_sgpr_kernarg_segment_ptr 1
		.amdhsa_user_sgpr_dispatch_id 0
		.amdhsa_user_sgpr_flat_scratch_init 0
		.amdhsa_user_sgpr_private_segment_size 0
		.amdhsa_uses_dynamic_stack 0
		.amdhsa_system_sgpr_private_segment_wavefront_offset 0
		.amdhsa_system_sgpr_workgroup_id_x 1
		.amdhsa_system_sgpr_workgroup_id_y 0
		.amdhsa_system_sgpr_workgroup_id_z 0
		.amdhsa_system_sgpr_workgroup_info 0
		.amdhsa_system_vgpr_workitem_id 0
		.amdhsa_next_free_vgpr 16
		.amdhsa_next_free_sgpr 66
		.amdhsa_reserve_vcc 1
		.amdhsa_reserve_flat_scratch 0
		.amdhsa_float_round_mode_32 0
		.amdhsa_float_round_mode_16_64 0
		.amdhsa_float_denorm_mode_32 3
		.amdhsa_float_denorm_mode_16_64 3
		.amdhsa_dx10_clamp 1
		.amdhsa_ieee_mode 1
		.amdhsa_fp16_overflow 0
		.amdhsa_exception_fp_ieee_invalid_op 0
		.amdhsa_exception_fp_denorm_src 0
		.amdhsa_exception_fp_ieee_div_zero 0
		.amdhsa_exception_fp_ieee_overflow 0
		.amdhsa_exception_fp_ieee_underflow 0
		.amdhsa_exception_fp_ieee_inexact 0
		.amdhsa_exception_int_div_zero 0
	.end_amdhsa_kernel
	.text
.Lfunc_end7:
	.size	naive_conv_ab_nonpacked_fwd_nchw_int8_t_int32_t_int8_t, .Lfunc_end7-naive_conv_ab_nonpacked_fwd_nchw_int8_t_int32_t_int8_t
                                        ; -- End function
	.set naive_conv_ab_nonpacked_fwd_nchw_int8_t_int32_t_int8_t.num_vgpr, 16
	.set naive_conv_ab_nonpacked_fwd_nchw_int8_t_int32_t_int8_t.num_agpr, 0
	.set naive_conv_ab_nonpacked_fwd_nchw_int8_t_int32_t_int8_t.numbered_sgpr, 66
	.set naive_conv_ab_nonpacked_fwd_nchw_int8_t_int32_t_int8_t.num_named_barrier, 0
	.set naive_conv_ab_nonpacked_fwd_nchw_int8_t_int32_t_int8_t.private_seg_size, 0
	.set naive_conv_ab_nonpacked_fwd_nchw_int8_t_int32_t_int8_t.uses_vcc, 1
	.set naive_conv_ab_nonpacked_fwd_nchw_int8_t_int32_t_int8_t.uses_flat_scratch, 0
	.set naive_conv_ab_nonpacked_fwd_nchw_int8_t_int32_t_int8_t.has_dyn_sized_stack, 0
	.set naive_conv_ab_nonpacked_fwd_nchw_int8_t_int32_t_int8_t.has_recursion, 0
	.set naive_conv_ab_nonpacked_fwd_nchw_int8_t_int32_t_int8_t.has_indirect_call, 0
	.section	.AMDGPU.csdata,"",@progbits
; Kernel info:
; codeLenInByte = 1356
; TotalNumSgprs: 70
; NumVgprs: 16
; ScratchSize: 0
; MemoryBound: 0
; FloatMode: 240
; IeeeMode: 1
; LDSByteSize: 0 bytes/workgroup (compile time only)
; SGPRBlocks: 8
; VGPRBlocks: 3
; NumSGPRsForWavesPerEU: 70
; NumVGPRsForWavesPerEU: 16
; Occupancy: 10
; WaveLimiterHint : 0
; COMPUTE_PGM_RSRC2:SCRATCH_EN: 0
; COMPUTE_PGM_RSRC2:USER_SGPR: 6
; COMPUTE_PGM_RSRC2:TRAP_HANDLER: 0
; COMPUTE_PGM_RSRC2:TGID_X_EN: 1
; COMPUTE_PGM_RSRC2:TGID_Y_EN: 0
; COMPUTE_PGM_RSRC2:TGID_Z_EN: 0
; COMPUTE_PGM_RSRC2:TIDIG_COMP_CNT: 0
	.text
	.protected	naive_conv_ab_packed_fwd_nchw_int8_t_int32_t_int32_t ; -- Begin function naive_conv_ab_packed_fwd_nchw_int8_t_int32_t_int32_t
	.globl	naive_conv_ab_packed_fwd_nchw_int8_t_int32_t_int32_t
	.p2align	8
	.type	naive_conv_ab_packed_fwd_nchw_int8_t_int32_t_int32_t,@function
naive_conv_ab_packed_fwd_nchw_int8_t_int32_t_int32_t: ; @naive_conv_ab_packed_fwd_nchw_int8_t_int32_t_int32_t
; %bb.0:
	s_load_dwordx16 s[8:23], s[4:5], 0xa0
	s_abs_i32 s2, s6
	s_waitcnt lgkmcnt(0)
	s_abs_i32 s0, s11
	v_cvt_f32_u32_e32 v1, s0
	s_sub_i32 s1, 0, s0
	s_mul_i32 s34, s11, s10
	s_mul_i32 s33, s14, s13
	v_rcp_iflag_f32_e32 v1, v1
	v_cmp_gt_i32_e32 vcc, s33, v0
	v_mul_f32_e32 v1, 0x4f7ffffe, v1
	v_cvt_u32_f32_e32 v1, v1
	v_readfirstlane_b32 s3, v1
	s_mul_i32 s1, s1, s3
	s_mul_hi_u32 s1, s3, s1
	s_add_i32 s3, s3, s1
	s_mul_hi_u32 s1, s2, s3
	s_mul_i32 s3, s1, s0
	s_sub_i32 s3, s2, s3
	s_add_i32 s7, s1, 1
	s_sub_i32 s24, s3, s0
	s_cmp_ge_u32 s3, s0
	s_cselect_b32 s1, s7, s1
	s_cselect_b32 s3, s24, s3
	s_add_i32 s7, s1, 1
	s_cmp_ge_u32 s3, s0
	s_cselect_b32 s35, s7, s1
	s_abs_i32 s7, s10
	s_abs_i32 s3, s34
	v_cvt_f32_u32_e32 v1, s7
	v_cvt_f32_u32_e32 v2, s3
	v_rcp_iflag_f32_e32 v1, v1
	v_rcp_iflag_f32_e32 v2, v2
	v_mul_f32_e32 v1, 0x4f7ffffe, v1
	v_mul_f32_e32 v2, 0x4f7ffffe, v2
	v_cvt_u32_f32_e32 v1, v1
	v_cvt_u32_f32_e32 v2, v2
	v_readfirstlane_b32 s36, v1
	v_readfirstlane_b32 s10, v2
	s_and_saveexec_b64 s[0:1], vcc
	s_cbranch_execz .LBB8_18
; %bb.1:
	s_ashr_i32 s37, s6, 31
	s_ashr_i32 s38, s11, 31
	s_xor_b32 s38, s37, s38
	s_sub_i32 s40, 0, s7
	s_xor_b32 s35, s35, s38
	s_mul_i32 s40, s40, s36
	s_sub_i32 s35, s35, s38
	s_mul_hi_u32 s40, s36, s40
	s_abs_i32 s39, s35
	s_add_i32 s36, s36, s40
	s_mul_hi_u32 s36, s39, s36
	s_sub_i32 s40, 0, s3
	s_ashr_i32 s38, s35, 31
	s_mul_i32 s40, s40, s10
	s_mul_i32 s35, s35, s11
	;; [unrolled: 1-line block ×3, first 2 shown]
	s_mul_hi_u32 s40, s10, s40
	s_sub_i32 s6, s6, s35
	s_sub_i32 s35, s39, s36
	s_ashr_i32 s34, s34, 31
	s_add_i32 s10, s10, s40
	s_sub_i32 s36, s35, s7
	s_cmp_ge_u32 s35, s7
	s_cselect_b32 s35, s36, s35
	s_sub_i32 s36, s35, s7
	s_mul_hi_u32 s10, s2, s10
	s_cmp_ge_u32 s35, s7
	s_cselect_b32 s7, s36, s35
	s_mul_i32 s35, s10, s3
	s_xor_b32 s7, s7, s38
	s_sub_i32 s2, s2, s35
	s_sub_i32 s7, s7, s38
	s_xor_b32 s34, s37, s34
	s_add_i32 s35, s10, 1
	s_sub_i32 s36, s2, s3
	s_cmp_ge_u32 s2, s3
	s_cselect_b32 s10, s35, s10
	s_cselect_b32 s2, s36, s2
	s_add_i32 s35, s10, 1
	s_cmp_ge_u32 s2, s3
	s_cselect_b32 s2, s35, s10
	s_xor_b32 s2, s2, s34
	s_mul_i32 s40, s23, s11
	s_mul_i32 s23, s23, s12
	s_sub_i32 s10, s2, s34
	s_mul_hi_i32 s2, s7, s23
	s_mul_i32 s3, s7, s23
	s_ashr_i32 s23, s8, 31
	s_ashr_i32 s38, s9, 31
	;; [unrolled: 1-line block ×3, first 2 shown]
	s_mul_i32 s36, s10, s12
	s_mul_hi_i32 s35, s10, s12
	s_add_u32 s3, s36, s3
	s_load_dwordx8 s[24:31], s[4:5], 0x0
	s_load_dwordx2 s[0:1], s[4:5], 0x20
	s_addc_u32 s2, s35, s2
	s_mul_i32 s36, s9, s8
	s_mul_hi_i32 s35, s9, s8
	s_mul_i32 s2, s36, s2
	s_mul_hi_u32 s37, s36, s3
	s_add_i32 s2, s37, s2
	s_mul_i32 s35, s35, s3
	s_add_i32 s35, s2, s35
	s_mul_i32 s36, s36, s3
	s_waitcnt lgkmcnt(0)
	s_add_u32 s2, s24, s36
	s_addc_u32 s3, s25, s35
	s_mul_hi_i32 s24, s10, s11
	s_mul_i32 s10, s10, s11
	s_ashr_i32 s39, s22, 31
	s_ashr_i32 s11, s6, 31
	s_add_u32 s35, s10, s6
	s_addc_u32 s36, s24, s11
	s_mul_hi_i32 s6, s7, s40
	s_mul_i32 s7, s7, s40
	s_ashr_i32 s40, s14, 31
	s_add_u32 s10, s35, s7
	s_addc_u32 s6, s36, s6
	s_mul_hi_i32 s7, s14, s13
	s_mul_i32 s6, s33, s6
	s_mul_hi_u32 s11, s33, s10
	s_add_i32 s6, s11, s6
	s_mul_i32 s7, s7, s10
	s_add_i32 s7, s6, s7
	s_mul_i32 s6, s33, s10
	s_lshl_b64 s[6:7], s[6:7], 2
	s_add_u32 s13, s0, s6
	s_addc_u32 s41, s1, s7
	s_cmp_gt_i32 s12, 0
	s_load_dword s37, s[4:5], 0xec
	s_cselect_b64 s[4:5], -1, 0
	s_cmp_gt_i32 s21, 0
	s_cselect_b64 s[6:7], -1, 0
	s_cmp_gt_i32 s22, 0
	s_cselect_b64 s[10:11], -1, 0
	s_abs_i32 s42, s14
	v_cvt_f32_u32_e32 v1, s42
	v_cmp_neq_f64_e64 s[0:1], s[28:29], 1.0
	v_cmp_neq_f64_e64 s[24:25], s[30:31], 0
	s_mov_b32 s43, s8
	v_rcp_iflag_f32_e32 v1, v1
	s_sub_i32 s8, 0, s42
	s_mul_i32 s47, s22, s21
	s_mov_b32 s45, s21
	v_mul_f32_e32 v1, 0x4f7ffffe, v1
	v_cvt_u32_f32_e32 v1, v1
	s_or_b64 s[24:25], s[0:1], s[24:25]
	s_mul_i32 s0, s47, s36
	s_mul_hi_u32 s1, s47, s35
	v_mul_lo_u32 v2, s8, v1
	s_mul_hi_i32 s21, s22, s21
	s_add_i32 s0, s1, s0
	s_mul_i32 s1, s21, s35
	s_add_i32 s0, s0, s1
	s_mul_i32 s1, s47, s35
	v_mul_hi_u32 v2, v1, v2
	v_cvt_i32_f64_e32 v4, s[28:29]
	s_mul_i32 s28, s1, s34
	s_mul_hi_u32 s29, s1, s12
	v_cvt_i32_f64_e32 v5, s[30:31]
	s_add_i32 s28, s29, s28
	s_mul_i32 s0, s0, s12
	s_waitcnt lgkmcnt(0)
	s_and_b32 s46, s37, 0xffff
	s_add_i32 s28, s28, s0
	s_mul_i32 s1, s1, s12
	s_add_u32 s26, s26, s1
	s_mov_b32 s44, s9
	s_mov_b64 s[8:9], 0
	v_add_u32_e32 v6, v1, v2
	v_mov_b32_e32 v7, 0
	s_addc_u32 s27, s27, s28
	s_branch .LBB8_3
.LBB8_2:                                ;   in Loop: Header=BB8_3 Depth=1
	v_add_u32_e32 v0, s46, v0
	v_cmp_le_i32_e32 vcc, s33, v0
	s_or_b64 s[8:9], vcc, s[8:9]
	s_andn2_b64 exec, exec, s[8:9]
	s_cbranch_execz .LBB8_18
.LBB8_3:                                ; =>This Loop Header: Depth=1
                                        ;     Child Loop BB8_6 Depth 2
                                        ;       Child Loop BB8_9 Depth 3
                                        ;         Child Loop BB8_12 Depth 4
	v_sub_u32_e32 v1, 0, v0
	v_max_i32_e32 v1, v0, v1
	v_mul_hi_u32 v2, v1, v6
	v_ashrrev_i32_e32 v8, 31, v0
	v_xor_b32_e32 v8, s40, v8
	v_mul_lo_u32 v3, v2, s42
	v_add_u32_e32 v9, 1, v2
	v_sub_u32_e32 v1, v1, v3
	v_cmp_le_u32_e32 vcc, s42, v1
	v_subrev_u32_e32 v3, s42, v1
	v_cndmask_b32_e32 v2, v2, v9, vcc
	v_cndmask_b32_e32 v1, v1, v3, vcc
	v_add_u32_e32 v3, 1, v2
	v_cmp_le_u32_e32 vcc, s42, v1
	v_cndmask_b32_e32 v1, v2, v3, vcc
	v_xor_b32_e32 v1, v1, v8
	v_sub_u32_e32 v9, v1, v8
	v_mul_lo_u32 v1, v9, s14
	s_andn2_b64 vcc, exec, s[4:5]
	v_mov_b32_e32 v8, 0
	v_sub_u32_e32 v1, v0, v1
	s_cbranch_vccnz .LBB8_14
; %bb.4:                                ;   in Loop: Header=BB8_3 Depth=1
	v_mul_lo_u32 v2, v9, s15
	v_mul_lo_u32 v3, v1, s16
	s_mov_b32 s48, 0
	v_mov_b32_e32 v8, 0
	v_subrev_u32_e32 v10, s19, v2
	v_subrev_u32_e32 v11, s20, v3
	s_mov_b64 s[28:29], s[26:27]
	s_branch .LBB8_6
.LBB8_5:                                ;   in Loop: Header=BB8_6 Depth=2
	s_add_i32 s48, s48, 1
	s_add_u32 s28, s28, s47
	s_addc_u32 s29, s29, s21
	s_cmp_eq_u32 s48, s12
	s_cbranch_scc1 .LBB8_14
.LBB8_6:                                ;   Parent Loop BB8_3 Depth=1
                                        ; =>  This Loop Header: Depth=2
                                        ;       Child Loop BB8_9 Depth 3
                                        ;         Child Loop BB8_12 Depth 4
	s_andn2_b64 vcc, exec, s[6:7]
	s_cbranch_vccnz .LBB8_5
; %bb.7:                                ;   in Loop: Header=BB8_6 Depth=2
	s_mul_i32 s0, s48, s23
	s_mul_hi_u32 s1, s48, s43
	s_add_i32 s49, s1, s0
	s_mul_i32 s50, s48, s43
	s_mov_b32 s51, 0
	s_mov_b64 s[30:31], s[28:29]
	s_branch .LBB8_9
.LBB8_8:                                ;   in Loop: Header=BB8_9 Depth=3
	s_add_i32 s51, s51, 1
	s_add_u32 s30, s30, s22
	s_addc_u32 s31, s31, s39
	s_cmp_eq_u32 s51, s45
	s_cbranch_scc1 .LBB8_5
.LBB8_9:                                ;   Parent Loop BB8_3 Depth=1
                                        ;     Parent Loop BB8_6 Depth=2
                                        ; =>    This Loop Header: Depth=3
                                        ;         Child Loop BB8_12 Depth 4
	s_andn2_b64 vcc, exec, s[10:11]
	s_cbranch_vccnz .LBB8_8
; %bb.10:                               ;   in Loop: Header=BB8_9 Depth=3
	s_mul_i32 s0, s51, s17
	v_add_u32_e32 v12, s0, v10
	v_mov_b32_e32 v2, s49
	v_add_co_u32_e32 v13, vcc, s50, v12
	v_addc_co_u32_e32 v2, vcc, 0, v2, vcc
	v_mul_lo_u32 v15, v2, s44
	v_mov_b32_e32 v2, s2
	v_mov_b32_e32 v3, s3
	v_mul_lo_u32 v14, v13, s38
	v_mad_u64_u32 v[2:3], s[0:1], v13, s44, v[2:3]
	v_cmp_gt_i32_e32 vcc, 0, v12
	v_cmp_le_i32_e64 s[0:1], s43, v12
	s_or_b64 s[34:35], vcc, s[0:1]
	v_add3_u32 v3, v15, v3, v14
	v_mov_b32_e32 v12, v11
	s_mov_b64 s[36:37], s[30:31]
	s_mov_b32 s52, s22
	s_branch .LBB8_12
.LBB8_11:                               ;   in Loop: Header=BB8_12 Depth=4
	s_or_b64 exec, exec, s[0:1]
	s_add_i32 s52, s52, -1
	s_add_u32 s36, s36, 1
	s_addc_u32 s37, s37, 0
	s_cmp_eq_u32 s52, 0
	v_add_u32_e32 v12, s18, v12
	s_cbranch_scc1 .LBB8_8
.LBB8_12:                               ;   Parent Loop BB8_3 Depth=1
                                        ;     Parent Loop BB8_6 Depth=2
                                        ;       Parent Loop BB8_9 Depth=3
                                        ; =>      This Inner Loop Header: Depth=4
	v_cmp_gt_i32_e32 vcc, 0, v12
	v_cmp_le_i32_e64 s[0:1], s44, v12
	s_or_b64 s[0:1], vcc, s[0:1]
	s_nor_b64 s[54:55], s[34:35], s[0:1]
	s_and_saveexec_b64 s[0:1], s[54:55]
	s_cbranch_execz .LBB8_11
; %bb.13:                               ;   in Loop: Header=BB8_12 Depth=4
	v_add_co_u32_e32 v13, vcc, v2, v12
	v_addc_co_u32_e32 v14, vcc, 0, v3, vcc
	global_load_sbyte v13, v[13:14], off
	s_nop 0
	global_load_sbyte v14, v7, s[36:37]
	s_waitcnt vmcnt(0)
	v_mad_i32_i24 v8, v14, v13, v8
	s_branch .LBB8_11
.LBB8_14:                               ;   in Loop: Header=BB8_3 Depth=1
	v_ashrrev_i32_e32 v2, 31, v1
	v_mad_i64_i32 v[1:2], s[0:1], v9, s14, v[1:2]
	s_mov_b64 s[0:1], -1
	s_and_b64 vcc, exec, s[24:25]
	s_cbranch_vccz .LBB8_16
; %bb.15:                               ;   in Loop: Header=BB8_3 Depth=1
	v_lshlrev_b64 v[9:10], 2, v[1:2]
	v_mov_b32_e32 v3, s41
	v_add_co_u32_e32 v9, vcc, s13, v9
	v_addc_co_u32_e32 v10, vcc, v3, v10, vcc
	global_load_dword v11, v[9:10], off
	v_mul_lo_u32 v3, v8, v4
	s_waitcnt vmcnt(0)
	v_mad_u64_u32 v[11:12], s[0:1], v11, v5, v[3:4]
	s_mov_b64 s[0:1], 0
	global_store_dword v[9:10], v11, off
.LBB8_16:                               ;   in Loop: Header=BB8_3 Depth=1
	s_andn2_b64 vcc, exec, s[0:1]
	s_cbranch_vccnz .LBB8_2
; %bb.17:                               ;   in Loop: Header=BB8_3 Depth=1
	v_lshlrev_b64 v[1:2], 2, v[1:2]
	v_mov_b32_e32 v3, s41
	v_add_co_u32_e32 v1, vcc, s13, v1
	v_addc_co_u32_e32 v2, vcc, v3, v2, vcc
	global_store_dword v[1:2], v8, off
	s_branch .LBB8_2
.LBB8_18:
	s_endpgm
	.section	.rodata,"a",@progbits
	.p2align	6, 0x0
	.amdhsa_kernel naive_conv_ab_packed_fwd_nchw_int8_t_int32_t_int32_t
		.amdhsa_group_segment_fixed_size 0
		.amdhsa_private_segment_fixed_size 0
		.amdhsa_kernarg_size 480
		.amdhsa_user_sgpr_count 6
		.amdhsa_user_sgpr_private_segment_buffer 1
		.amdhsa_user_sgpr_dispatch_ptr 0
		.amdhsa_user_sgpr_queue_ptr 0
		.amdhsa_user_sgpr_kernarg_segment_ptr 1
		.amdhsa_user_sgpr_dispatch_id 0
		.amdhsa_user_sgpr_flat_scratch_init 0
		.amdhsa_user_sgpr_private_segment_size 0
		.amdhsa_uses_dynamic_stack 0
		.amdhsa_system_sgpr_private_segment_wavefront_offset 0
		.amdhsa_system_sgpr_workgroup_id_x 1
		.amdhsa_system_sgpr_workgroup_id_y 0
		.amdhsa_system_sgpr_workgroup_id_z 0
		.amdhsa_system_sgpr_workgroup_info 0
		.amdhsa_system_vgpr_workitem_id 0
		.amdhsa_next_free_vgpr 16
		.amdhsa_next_free_sgpr 56
		.amdhsa_reserve_vcc 1
		.amdhsa_reserve_flat_scratch 0
		.amdhsa_float_round_mode_32 0
		.amdhsa_float_round_mode_16_64 0
		.amdhsa_float_denorm_mode_32 3
		.amdhsa_float_denorm_mode_16_64 3
		.amdhsa_dx10_clamp 1
		.amdhsa_ieee_mode 1
		.amdhsa_fp16_overflow 0
		.amdhsa_exception_fp_ieee_invalid_op 0
		.amdhsa_exception_fp_denorm_src 0
		.amdhsa_exception_fp_ieee_div_zero 0
		.amdhsa_exception_fp_ieee_overflow 0
		.amdhsa_exception_fp_ieee_underflow 0
		.amdhsa_exception_fp_ieee_inexact 0
		.amdhsa_exception_int_div_zero 0
	.end_amdhsa_kernel
	.text
.Lfunc_end8:
	.size	naive_conv_ab_packed_fwd_nchw_int8_t_int32_t_int32_t, .Lfunc_end8-naive_conv_ab_packed_fwd_nchw_int8_t_int32_t_int32_t
                                        ; -- End function
	.set naive_conv_ab_packed_fwd_nchw_int8_t_int32_t_int32_t.num_vgpr, 16
	.set naive_conv_ab_packed_fwd_nchw_int8_t_int32_t_int32_t.num_agpr, 0
	.set naive_conv_ab_packed_fwd_nchw_int8_t_int32_t_int32_t.numbered_sgpr, 56
	.set naive_conv_ab_packed_fwd_nchw_int8_t_int32_t_int32_t.num_named_barrier, 0
	.set naive_conv_ab_packed_fwd_nchw_int8_t_int32_t_int32_t.private_seg_size, 0
	.set naive_conv_ab_packed_fwd_nchw_int8_t_int32_t_int32_t.uses_vcc, 1
	.set naive_conv_ab_packed_fwd_nchw_int8_t_int32_t_int32_t.uses_flat_scratch, 0
	.set naive_conv_ab_packed_fwd_nchw_int8_t_int32_t_int32_t.has_dyn_sized_stack, 0
	.set naive_conv_ab_packed_fwd_nchw_int8_t_int32_t_int32_t.has_recursion, 0
	.set naive_conv_ab_packed_fwd_nchw_int8_t_int32_t_int32_t.has_indirect_call, 0
	.section	.AMDGPU.csdata,"",@progbits
; Kernel info:
; codeLenInByte = 1312
; TotalNumSgprs: 60
; NumVgprs: 16
; ScratchSize: 0
; MemoryBound: 0
; FloatMode: 240
; IeeeMode: 1
; LDSByteSize: 0 bytes/workgroup (compile time only)
; SGPRBlocks: 7
; VGPRBlocks: 3
; NumSGPRsForWavesPerEU: 60
; NumVGPRsForWavesPerEU: 16
; Occupancy: 10
; WaveLimiterHint : 0
; COMPUTE_PGM_RSRC2:SCRATCH_EN: 0
; COMPUTE_PGM_RSRC2:USER_SGPR: 6
; COMPUTE_PGM_RSRC2:TRAP_HANDLER: 0
; COMPUTE_PGM_RSRC2:TGID_X_EN: 1
; COMPUTE_PGM_RSRC2:TGID_Y_EN: 0
; COMPUTE_PGM_RSRC2:TGID_Z_EN: 0
; COMPUTE_PGM_RSRC2:TIDIG_COMP_CNT: 0
	.text
	.protected	naive_conv_ab_nonpacked_fwd_nchw_int8_t_int32_t_int32_t ; -- Begin function naive_conv_ab_nonpacked_fwd_nchw_int8_t_int32_t_int32_t
	.globl	naive_conv_ab_nonpacked_fwd_nchw_int8_t_int32_t_int32_t
	.p2align	8
	.type	naive_conv_ab_nonpacked_fwd_nchw_int8_t_int32_t_int32_t,@function
naive_conv_ab_nonpacked_fwd_nchw_int8_t_int32_t_int32_t: ; @naive_conv_ab_nonpacked_fwd_nchw_int8_t_int32_t_int32_t
; %bb.0:
	s_load_dwordx8 s[24:31], s[4:5], 0xa0
	s_abs_i32 s7, s6
	s_waitcnt lgkmcnt(0)
	s_abs_i32 s1, s27
	v_cvt_f32_u32_e32 v1, s1
	s_sub_i32 s2, 0, s1
	s_mul_i32 s0, s27, s26
	s_mul_i32 s29, s30, s29
	v_rcp_iflag_f32_e32 v1, v1
	v_cmp_gt_i32_e32 vcc, s29, v0
	v_mul_f32_e32 v1, 0x4f7ffffe, v1
	v_cvt_u32_f32_e32 v1, v1
	v_readfirstlane_b32 s3, v1
	s_mul_i32 s2, s2, s3
	s_mul_hi_u32 s2, s3, s2
	s_add_i32 s3, s3, s2
	s_mul_hi_u32 s2, s7, s3
	s_mul_i32 s3, s2, s1
	s_sub_i32 s3, s7, s3
	s_add_i32 s8, s2, 1
	s_sub_i32 s9, s3, s1
	s_cmp_ge_u32 s3, s1
	s_cselect_b32 s2, s8, s2
	s_cselect_b32 s3, s9, s3
	s_add_i32 s8, s2, 1
	s_cmp_ge_u32 s3, s1
	s_cselect_b32 s1, s8, s2
	s_abs_i32 s33, s26
	s_abs_i32 s26, s0
	v_cvt_f32_u32_e32 v1, s33
	v_cvt_f32_u32_e32 v2, s26
	v_rcp_iflag_f32_e32 v1, v1
	v_rcp_iflag_f32_e32 v2, v2
	v_mul_f32_e32 v1, 0x4f7ffffe, v1
	v_mul_f32_e32 v2, 0x4f7ffffe, v2
	v_cvt_u32_f32_e32 v1, v1
	v_cvt_u32_f32_e32 v2, v2
	v_readfirstlane_b32 s3, v1
	v_readfirstlane_b32 s2, v2
	s_and_saveexec_b64 s[8:9], vcc
	s_cbranch_execz .LBB9_18
; %bb.1:
	s_ashr_i32 s44, s6, 31
	s_ashr_i32 s8, s27, 31
	s_xor_b32 s8, s44, s8
	s_xor_b32 s1, s1, s8
	s_sub_i32 s45, s1, s8
	s_sub_i32 s1, 0, s33
	s_mul_i32 s1, s1, s3
	s_mul_hi_u32 s1, s3, s1
	s_abs_i32 s47, s45
	s_add_i32 s3, s3, s1
	s_mul_hi_u32 s48, s47, s3
	s_ashr_i32 s49, s0, 31
	s_sub_i32 s0, 0, s26
	s_ashr_i32 s46, s45, 31
	s_mul_i32 s0, s0, s2
	s_mul_i32 s45, s45, s27
	;; [unrolled: 1-line block ×3, first 2 shown]
	s_mul_hi_u32 s0, s2, s0
	s_sub_i32 s27, s6, s45
	s_sub_i32 s6, s47, s48
	s_add_i32 s2, s2, s0
	s_sub_i32 s45, s6, s33
	s_cmp_ge_u32 s6, s33
	s_cselect_b32 s6, s45, s6
	s_sub_i32 s45, s6, s33
	s_mul_hi_u32 s50, s7, s2
	s_cmp_ge_u32 s6, s33
	s_cselect_b32 s6, s45, s6
	s_xor_b32 s33, s44, s49
	s_mul_i32 s44, s50, s26
	s_xor_b32 s6, s6, s46
	s_sub_i32 s7, s7, s44
	s_sub_i32 s6, s6, s46
	s_add_i32 s44, s50, 1
	s_sub_i32 s45, s7, s26
	s_cmp_ge_u32 s7, s26
	s_cselect_b32 s44, s44, s50
	s_cselect_b32 s7, s45, s7
	s_add_i32 s45, s44, 1
	s_cmp_ge_u32 s7, s26
	s_cselect_b32 s7, s45, s44
	s_load_dwordx16 s[8:23], s[4:5], 0x28
	s_load_dwordx2 s[34:35], s[4:5], 0x98
	s_load_dwordx4 s[0:3], s[4:5], 0x88
	s_load_dwordx8 s[36:43], s[4:5], 0x68
	s_xor_b32 s7, s7, s33
	s_sub_i32 s26, s7, s33
	s_ashr_i32 s7, s6, 31
	s_waitcnt lgkmcnt(0)
	s_mul_i32 s33, s16, s7
	s_mul_hi_u32 s44, s16, s6
	s_load_dwordx8 s[52:59], s[4:5], 0x0
	s_add_i32 s33, s44, s33
	s_mul_i32 s17, s17, s6
	s_add_i32 s33, s33, s17
	s_ashr_i32 s17, s26, 31
	s_mul_i32 s44, s14, s17
	s_mul_hi_u32 s45, s14, s26
	s_add_i32 s44, s45, s44
	s_mul_i32 s15, s15, s26
	s_mul_i32 s16, s16, s6
	s_add_i32 s44, s44, s15
	s_waitcnt lgkmcnt(0)
	s_add_u32 s15, s52, s16
	s_mul_i32 s14, s14, s26
	s_addc_u32 s16, s53, s33
	s_add_u32 s33, s15, s14
	s_mul_i32 s14, s38, s17
	s_mul_hi_u32 s15, s38, s26
	s_addc_u32 s60, s16, s44
	s_add_i32 s14, s15, s14
	s_mul_i32 s15, s39, s26
	s_ashr_i32 s16, s27, 31
	s_add_i32 s39, s14, s15
	s_mul_i32 s14, s36, s16
	s_mul_hi_u32 s15, s36, s27
	s_add_i32 s14, s15, s14
	s_mul_i32 s15, s37, s27
	s_add_i32 s37, s14, s15
	s_mul_i32 s7, s34, s7
	s_mul_hi_u32 s14, s34, s6
	s_add_i32 s7, s14, s7
	s_mul_i32 s35, s35, s6
	s_mul_i32 s6, s34, s6
	s_load_dwordx2 s[14:15], s[4:5], 0x20
	s_mul_i32 s17, s2, s17
	s_mul_hi_u32 s34, s2, s26
	s_add_i32 s17, s34, s17
	s_mul_i32 s3, s3, s26
	s_add_i32 s3, s17, s3
	s_mul_i32 s16, s0, s16
	s_mul_hi_u32 s17, s0, s27
	s_add_i32 s7, s7, s35
	s_add_i32 s16, s17, s16
	s_mul_i32 s1, s1, s27
	s_add_i32 s1, s16, s1
	s_lshl_b64 s[6:7], s[6:7], 2
	s_mul_i32 s2, s2, s26
	s_waitcnt lgkmcnt(0)
	s_add_u32 s6, s14, s6
	s_addc_u32 s7, s15, s7
	s_lshl_b64 s[2:3], s[2:3], 2
	s_mul_i32 s0, s0, s27
	s_add_u32 s2, s6, s2
	s_load_dwordx8 s[44:51], s[4:5], 0xc0
	s_addc_u32 s3, s7, s3
	s_lshl_b64 s[0:1], s[0:1], 2
	s_waitcnt lgkmcnt(0)
	s_add_u32 s51, s2, s0
	s_addc_u32 s61, s3, s1
	s_cmp_gt_i32 s28, 0
	s_cselect_b64 s[2:3], -1, 0
	s_cmp_gt_i32 s49, 0
	s_cselect_b64 s[6:7], -1, 0
	s_cmp_gt_i32 s50, 0
	v_cmp_neq_f64_e64 s[0:1], s[56:57], 1.0
	v_cmp_neq_f64_e64 s[16:17], s[58:59], 0
	s_cselect_b64 s[14:15], -1, 0
	s_abs_i32 s64, s30
	v_cvt_f32_u32_e32 v1, s64
	s_ashr_i32 s63, s30, 31
	v_cvt_i32_f64_e32 v3, s[56:57]
	v_cvt_i32_f64_e32 v4, s[58:59]
	v_rcp_iflag_f32_e32 v1, v1
	s_or_b64 s[16:17], s[0:1], s[16:17]
	s_load_dword s0, s[4:5], 0xec
	s_mul_i32 s1, s38, s26
	v_mul_f32_e32 v1, 0x4f7ffffe, v1
	v_cvt_u32_f32_e32 v1, v1
	s_mul_i32 s4, s36, s27
	s_waitcnt lgkmcnt(0)
	s_and_b32 s62, s0, 0xffff
	s_sub_i32 s0, 0, s64
	v_mul_lo_u32 v2, s0, v1
	s_add_u32 s1, s4, s1
	s_addc_u32 s5, s37, s39
	s_add_u32 s4, s54, s1
	v_mul_hi_u32 v2, v1, v2
	s_addc_u32 s5, s55, s5
	s_mov_b64 s[26:27], 0
	v_mov_b32_e32 v6, 0
	v_add_u32_e32 v5, v1, v2
	s_branch .LBB9_3
.LBB9_2:                                ;   in Loop: Header=BB9_3 Depth=1
	v_add_u32_e32 v0, s62, v0
	v_cmp_le_i32_e32 vcc, s29, v0
	s_or_b64 s[26:27], vcc, s[26:27]
	s_andn2_b64 exec, exec, s[26:27]
	s_cbranch_execz .LBB9_18
.LBB9_3:                                ; =>This Loop Header: Depth=1
                                        ;     Child Loop BB9_6 Depth 2
                                        ;       Child Loop BB9_9 Depth 3
                                        ;         Child Loop BB9_12 Depth 4
	v_sub_u32_e32 v1, 0, v0
	v_max_i32_e32 v1, v0, v1
	v_mul_hi_u32 v2, v1, v5
	v_ashrrev_i32_e32 v8, 31, v0
	v_xor_b32_e32 v8, s63, v8
	v_mul_lo_u32 v7, v2, s64
	v_add_u32_e32 v9, 1, v2
	v_sub_u32_e32 v1, v1, v7
	v_cmp_le_u32_e32 vcc, s64, v1
	v_subrev_u32_e32 v7, s64, v1
	v_cndmask_b32_e32 v2, v2, v9, vcc
	v_cndmask_b32_e32 v1, v1, v7, vcc
	v_add_u32_e32 v7, 1, v2
	v_cmp_le_u32_e32 vcc, s64, v1
	v_cndmask_b32_e32 v1, v2, v7, vcc
	v_xor_b32_e32 v1, v1, v8
	v_sub_u32_e32 v9, v1, v8
	v_mul_lo_u32 v1, v9, s30
	s_andn2_b64 vcc, exec, s[2:3]
	v_mov_b32_e32 v7, 0
	v_sub_u32_e32 v8, v0, v1
	s_cbranch_vccnz .LBB9_14
; %bb.4:                                ;   in Loop: Header=BB9_3 Depth=1
	v_mul_lo_u32 v1, v9, s31
	v_mul_lo_u32 v2, v8, s44
	s_mov_b32 s56, 0
	v_mov_b32_e32 v7, 0
	v_subrev_u32_e32 v10, s47, v1
	v_subrev_u32_e32 v11, s48, v2
	s_mov_b64 s[34:35], s[4:5]
	s_branch .LBB9_6
.LBB9_5:                                ;   in Loop: Header=BB9_6 Depth=2
	s_add_i32 s56, s56, 1
	s_add_u32 s34, s34, s22
	s_addc_u32 s35, s35, s23
	s_cmp_eq_u32 s56, s28
	s_cbranch_scc1 .LBB9_14
.LBB9_6:                                ;   Parent Loop BB9_3 Depth=1
                                        ; =>  This Loop Header: Depth=2
                                        ;       Child Loop BB9_9 Depth 3
                                        ;         Child Loop BB9_12 Depth 4
	s_andn2_b64 vcc, exec, s[6:7]
	s_cbranch_vccnz .LBB9_5
; %bb.7:                                ;   in Loop: Header=BB9_6 Depth=2
	s_mul_i32 s0, s13, s56
	s_mul_hi_u32 s1, s12, s56
	s_add_i32 s1, s1, s0
	s_mul_i32 s0, s12, s56
	s_add_u32 s36, s33, s0
	s_addc_u32 s37, s60, s1
	s_mov_b32 s57, 0
	s_mov_b64 s[38:39], s[34:35]
	s_branch .LBB9_9
.LBB9_8:                                ;   in Loop: Header=BB9_9 Depth=3
	s_add_i32 s57, s57, 1
	s_add_u32 s38, s38, s20
	s_addc_u32 s39, s39, s21
	s_cmp_eq_u32 s57, s49
	s_cbranch_scc1 .LBB9_5
.LBB9_9:                                ;   Parent Loop BB9_3 Depth=1
                                        ;     Parent Loop BB9_6 Depth=2
                                        ; =>    This Loop Header: Depth=3
                                        ;         Child Loop BB9_12 Depth 4
	s_andn2_b64 vcc, exec, s[14:15]
	s_cbranch_vccnz .LBB9_8
; %bb.10:                               ;   in Loop: Header=BB9_9 Depth=3
	s_mul_i32 s0, s57, s45
	v_mov_b32_e32 v1, s36
	v_add_u32_e32 v14, s0, v10
	v_mov_b32_e32 v2, s37
	v_mad_u64_u32 v[1:2], s[0:1], s10, v14, v[1:2]
	v_cmp_gt_i32_e32 vcc, 0, v14
	s_mov_b64 s[54:55], s[38:39]
	v_mad_u64_u32 v[12:13], s[0:1], s11, v14, v[2:3]
	v_cmp_le_i32_e64 s[0:1], s24, v14
	s_or_b64 s[52:53], vcc, s[0:1]
	v_mov_b32_e32 v2, v12
	v_mov_b32_e32 v12, v11
	s_mov_b32 s58, s50
	s_branch .LBB9_12
.LBB9_11:                               ;   in Loop: Header=BB9_12 Depth=4
	s_or_b64 exec, exec, s[0:1]
	s_add_i32 s58, s58, -1
	s_add_u32 s54, s54, s18
	s_addc_u32 s55, s55, s19
	s_cmp_eq_u32 s58, 0
	v_add_u32_e32 v12, s46, v12
	s_cbranch_scc1 .LBB9_8
.LBB9_12:                               ;   Parent Loop BB9_3 Depth=1
                                        ;     Parent Loop BB9_6 Depth=2
                                        ;       Parent Loop BB9_9 Depth=3
                                        ; =>      This Inner Loop Header: Depth=4
	v_cmp_gt_i32_e32 vcc, 0, v12
	v_cmp_le_i32_e64 s[0:1], s25, v12
	s_or_b64 s[0:1], vcc, s[0:1]
	s_nor_b64 s[66:67], s[52:53], s[0:1]
	s_and_saveexec_b64 s[0:1], s[66:67]
	s_cbranch_execz .LBB9_11
; %bb.13:                               ;   in Loop: Header=BB9_12 Depth=4
	v_mad_u64_u32 v[13:14], s[66:67], s8, v12, v[1:2]
	v_mad_u64_u32 v[14:15], s[66:67], s9, v12, v[14:15]
	global_load_sbyte v13, v[13:14], off
	s_nop 0
	global_load_sbyte v14, v6, s[54:55]
	s_waitcnt vmcnt(0)
	v_mad_i32_i24 v7, v14, v13, v7
	s_branch .LBB9_11
.LBB9_14:                               ;   in Loop: Header=BB9_3 Depth=1
	v_ashrrev_i32_e32 v10, 31, v9
	v_mul_lo_u32 v11, s43, v9
	v_mad_u64_u32 v[1:2], s[0:1], s42, v9, 0
	v_mul_lo_u32 v9, s42, v10
	s_and_b64 vcc, exec, s[16:17]
	v_add3_u32 v2, v2, v9, v11
	v_ashrrev_i32_e32 v9, 31, v8
	v_mad_u64_u32 v[1:2], s[0:1], s40, v8, v[1:2]
	v_mul_lo_u32 v8, s41, v8
	v_mul_lo_u32 v9, s40, v9
	s_mov_b64 s[0:1], -1
	v_add3_u32 v2, v8, v2, v9
	s_cbranch_vccz .LBB9_16
; %bb.15:                               ;   in Loop: Header=BB9_3 Depth=1
	v_lshlrev_b64 v[8:9], 2, v[1:2]
	v_mov_b32_e32 v10, s61
	v_add_co_u32_e32 v8, vcc, s51, v8
	v_addc_co_u32_e32 v9, vcc, v10, v9, vcc
	global_load_dword v11, v[8:9], off
	v_mul_lo_u32 v10, v7, v3
	s_waitcnt vmcnt(0)
	v_mad_u64_u32 v[10:11], s[0:1], v11, v4, v[10:11]
	s_mov_b64 s[0:1], 0
	global_store_dword v[8:9], v10, off
.LBB9_16:                               ;   in Loop: Header=BB9_3 Depth=1
	s_andn2_b64 vcc, exec, s[0:1]
	s_cbranch_vccnz .LBB9_2
; %bb.17:                               ;   in Loop: Header=BB9_3 Depth=1
	v_lshlrev_b64 v[1:2], 2, v[1:2]
	v_mov_b32_e32 v8, s61
	v_add_co_u32_e32 v1, vcc, s51, v1
	v_addc_co_u32_e32 v2, vcc, v8, v2, vcc
	global_store_dword v[1:2], v7, off
	s_branch .LBB9_2
.LBB9_18:
	s_endpgm
	.section	.rodata,"a",@progbits
	.p2align	6, 0x0
	.amdhsa_kernel naive_conv_ab_nonpacked_fwd_nchw_int8_t_int32_t_int32_t
		.amdhsa_group_segment_fixed_size 0
		.amdhsa_private_segment_fixed_size 0
		.amdhsa_kernarg_size 480
		.amdhsa_user_sgpr_count 6
		.amdhsa_user_sgpr_private_segment_buffer 1
		.amdhsa_user_sgpr_dispatch_ptr 0
		.amdhsa_user_sgpr_queue_ptr 0
		.amdhsa_user_sgpr_kernarg_segment_ptr 1
		.amdhsa_user_sgpr_dispatch_id 0
		.amdhsa_user_sgpr_flat_scratch_init 0
		.amdhsa_user_sgpr_private_segment_size 0
		.amdhsa_uses_dynamic_stack 0
		.amdhsa_system_sgpr_private_segment_wavefront_offset 0
		.amdhsa_system_sgpr_workgroup_id_x 1
		.amdhsa_system_sgpr_workgroup_id_y 0
		.amdhsa_system_sgpr_workgroup_id_z 0
		.amdhsa_system_sgpr_workgroup_info 0
		.amdhsa_system_vgpr_workitem_id 0
		.amdhsa_next_free_vgpr 16
		.amdhsa_next_free_sgpr 68
		.amdhsa_reserve_vcc 1
		.amdhsa_reserve_flat_scratch 0
		.amdhsa_float_round_mode_32 0
		.amdhsa_float_round_mode_16_64 0
		.amdhsa_float_denorm_mode_32 3
		.amdhsa_float_denorm_mode_16_64 3
		.amdhsa_dx10_clamp 1
		.amdhsa_ieee_mode 1
		.amdhsa_fp16_overflow 0
		.amdhsa_exception_fp_ieee_invalid_op 0
		.amdhsa_exception_fp_denorm_src 0
		.amdhsa_exception_fp_ieee_div_zero 0
		.amdhsa_exception_fp_ieee_overflow 0
		.amdhsa_exception_fp_ieee_underflow 0
		.amdhsa_exception_fp_ieee_inexact 0
		.amdhsa_exception_int_div_zero 0
	.end_amdhsa_kernel
	.text
.Lfunc_end9:
	.size	naive_conv_ab_nonpacked_fwd_nchw_int8_t_int32_t_int32_t, .Lfunc_end9-naive_conv_ab_nonpacked_fwd_nchw_int8_t_int32_t_int32_t
                                        ; -- End function
	.set naive_conv_ab_nonpacked_fwd_nchw_int8_t_int32_t_int32_t.num_vgpr, 16
	.set naive_conv_ab_nonpacked_fwd_nchw_int8_t_int32_t_int32_t.num_agpr, 0
	.set naive_conv_ab_nonpacked_fwd_nchw_int8_t_int32_t_int32_t.numbered_sgpr, 68
	.set naive_conv_ab_nonpacked_fwd_nchw_int8_t_int32_t_int32_t.num_named_barrier, 0
	.set naive_conv_ab_nonpacked_fwd_nchw_int8_t_int32_t_int32_t.private_seg_size, 0
	.set naive_conv_ab_nonpacked_fwd_nchw_int8_t_int32_t_int32_t.uses_vcc, 1
	.set naive_conv_ab_nonpacked_fwd_nchw_int8_t_int32_t_int32_t.uses_flat_scratch, 0
	.set naive_conv_ab_nonpacked_fwd_nchw_int8_t_int32_t_int32_t.has_dyn_sized_stack, 0
	.set naive_conv_ab_nonpacked_fwd_nchw_int8_t_int32_t_int32_t.has_recursion, 0
	.set naive_conv_ab_nonpacked_fwd_nchw_int8_t_int32_t_int32_t.has_indirect_call, 0
	.section	.AMDGPU.csdata,"",@progbits
; Kernel info:
; codeLenInByte = 1424
; TotalNumSgprs: 72
; NumVgprs: 16
; ScratchSize: 0
; MemoryBound: 0
; FloatMode: 240
; IeeeMode: 1
; LDSByteSize: 0 bytes/workgroup (compile time only)
; SGPRBlocks: 8
; VGPRBlocks: 3
; NumSGPRsForWavesPerEU: 72
; NumVGPRsForWavesPerEU: 16
; Occupancy: 10
; WaveLimiterHint : 0
; COMPUTE_PGM_RSRC2:SCRATCH_EN: 0
; COMPUTE_PGM_RSRC2:USER_SGPR: 6
; COMPUTE_PGM_RSRC2:TRAP_HANDLER: 0
; COMPUTE_PGM_RSRC2:TGID_X_EN: 1
; COMPUTE_PGM_RSRC2:TGID_Y_EN: 0
; COMPUTE_PGM_RSRC2:TGID_Z_EN: 0
; COMPUTE_PGM_RSRC2:TIDIG_COMP_CNT: 0
	.text
	.protected	naive_conv_ab_packed_fwd_nchw_int8_t_int32_t_float ; -- Begin function naive_conv_ab_packed_fwd_nchw_int8_t_int32_t_float
	.globl	naive_conv_ab_packed_fwd_nchw_int8_t_int32_t_float
	.p2align	8
	.type	naive_conv_ab_packed_fwd_nchw_int8_t_int32_t_float,@function
naive_conv_ab_packed_fwd_nchw_int8_t_int32_t_float: ; @naive_conv_ab_packed_fwd_nchw_int8_t_int32_t_float
; %bb.0:
	s_load_dwordx16 s[8:23], s[4:5], 0xa0
	s_abs_i32 s2, s6
	s_waitcnt lgkmcnt(0)
	s_abs_i32 s0, s11
	v_cvt_f32_u32_e32 v1, s0
	s_sub_i32 s1, 0, s0
	s_mul_i32 s34, s11, s10
	s_mul_i32 s33, s14, s13
	v_rcp_iflag_f32_e32 v1, v1
	v_cmp_gt_i32_e32 vcc, s33, v0
	v_mul_f32_e32 v1, 0x4f7ffffe, v1
	v_cvt_u32_f32_e32 v1, v1
	v_readfirstlane_b32 s3, v1
	s_mul_i32 s1, s1, s3
	s_mul_hi_u32 s1, s3, s1
	s_add_i32 s3, s3, s1
	s_mul_hi_u32 s1, s2, s3
	s_mul_i32 s3, s1, s0
	s_sub_i32 s3, s2, s3
	s_add_i32 s7, s1, 1
	s_sub_i32 s24, s3, s0
	s_cmp_ge_u32 s3, s0
	s_cselect_b32 s1, s7, s1
	s_cselect_b32 s3, s24, s3
	s_add_i32 s7, s1, 1
	s_cmp_ge_u32 s3, s0
	s_cselect_b32 s35, s7, s1
	s_abs_i32 s7, s10
	s_abs_i32 s3, s34
	v_cvt_f32_u32_e32 v1, s7
	v_cvt_f32_u32_e32 v2, s3
	v_rcp_iflag_f32_e32 v1, v1
	v_rcp_iflag_f32_e32 v2, v2
	v_mul_f32_e32 v1, 0x4f7ffffe, v1
	v_mul_f32_e32 v2, 0x4f7ffffe, v2
	v_cvt_u32_f32_e32 v1, v1
	v_cvt_u32_f32_e32 v2, v2
	v_readfirstlane_b32 s36, v1
	v_readfirstlane_b32 s10, v2
	s_and_saveexec_b64 s[0:1], vcc
	s_cbranch_execz .LBB10_16
; %bb.1:
	s_ashr_i32 s37, s6, 31
	s_ashr_i32 s38, s11, 31
	s_xor_b32 s38, s37, s38
	s_sub_i32 s40, 0, s7
	s_xor_b32 s35, s35, s38
	s_mul_i32 s40, s40, s36
	s_sub_i32 s35, s35, s38
	s_mul_hi_u32 s40, s36, s40
	s_abs_i32 s39, s35
	s_add_i32 s36, s36, s40
	s_mul_hi_u32 s36, s39, s36
	s_sub_i32 s40, 0, s3
	s_ashr_i32 s38, s35, 31
	s_mul_i32 s40, s40, s10
	s_mul_i32 s35, s35, s11
	;; [unrolled: 1-line block ×3, first 2 shown]
	s_mul_hi_u32 s40, s10, s40
	s_sub_i32 s6, s6, s35
	s_sub_i32 s35, s39, s36
	s_ashr_i32 s34, s34, 31
	s_add_i32 s10, s10, s40
	s_sub_i32 s36, s35, s7
	s_cmp_ge_u32 s35, s7
	s_cselect_b32 s35, s36, s35
	s_sub_i32 s36, s35, s7
	s_mul_hi_u32 s10, s2, s10
	s_cmp_ge_u32 s35, s7
	s_cselect_b32 s7, s36, s35
	s_mul_i32 s35, s10, s3
	s_xor_b32 s7, s7, s38
	s_sub_i32 s2, s2, s35
	s_sub_i32 s7, s7, s38
	s_xor_b32 s34, s37, s34
	s_add_i32 s35, s10, 1
	s_sub_i32 s36, s2, s3
	s_cmp_ge_u32 s2, s3
	s_cselect_b32 s10, s35, s10
	s_cselect_b32 s2, s36, s2
	s_add_i32 s35, s10, 1
	s_cmp_ge_u32 s2, s3
	s_cselect_b32 s2, s35, s10
	s_xor_b32 s2, s2, s34
	s_mul_i32 s40, s23, s11
	s_mul_i32 s23, s23, s12
	s_sub_i32 s10, s2, s34
	s_mul_hi_i32 s2, s7, s23
	s_mul_i32 s3, s7, s23
	s_ashr_i32 s23, s8, 31
	s_ashr_i32 s38, s9, 31
	;; [unrolled: 1-line block ×3, first 2 shown]
	s_mul_i32 s36, s10, s12
	s_mul_hi_i32 s35, s10, s12
	s_add_u32 s3, s36, s3
	s_load_dwordx8 s[24:31], s[4:5], 0x0
	s_load_dwordx2 s[0:1], s[4:5], 0x20
	s_addc_u32 s2, s35, s2
	s_mul_i32 s36, s9, s8
	s_mul_hi_i32 s35, s9, s8
	s_mul_i32 s2, s36, s2
	s_mul_hi_u32 s37, s36, s3
	s_add_i32 s2, s37, s2
	s_mul_i32 s35, s35, s3
	s_add_i32 s35, s2, s35
	s_mul_i32 s36, s36, s3
	s_waitcnt lgkmcnt(0)
	s_add_u32 s2, s24, s36
	s_addc_u32 s3, s25, s35
	s_mul_hi_i32 s24, s10, s11
	s_mul_i32 s10, s10, s11
	s_ashr_i32 s39, s22, 31
	s_ashr_i32 s11, s6, 31
	s_add_u32 s35, s10, s6
	s_addc_u32 s36, s24, s11
	s_mul_hi_i32 s6, s7, s40
	s_mul_i32 s7, s7, s40
	s_ashr_i32 s40, s14, 31
	s_add_u32 s10, s35, s7
	s_addc_u32 s6, s36, s6
	s_mul_hi_i32 s7, s14, s13
	s_mul_i32 s6, s33, s6
	s_mul_hi_u32 s11, s33, s10
	s_add_i32 s6, s11, s6
	s_mul_i32 s7, s7, s10
	s_add_i32 s7, s6, s7
	s_mul_i32 s6, s33, s10
	s_lshl_b64 s[6:7], s[6:7], 2
	s_add_u32 s13, s0, s6
	s_addc_u32 s41, s1, s7
	s_cmp_gt_i32 s12, 0
	s_load_dword s37, s[4:5], 0xec
	s_cselect_b64 s[4:5], -1, 0
	s_cmp_gt_i32 s21, 0
	s_cselect_b64 s[6:7], -1, 0
	s_cmp_gt_i32 s22, 0
	s_cselect_b64 s[10:11], -1, 0
	s_abs_i32 s42, s14
	v_cvt_f32_u32_e32 v1, s42
	v_cmp_neq_f64_e64 s[0:1], s[28:29], 1.0
	v_cmp_neq_f64_e64 s[24:25], s[30:31], 0
	s_mov_b32 s43, s8
	v_rcp_iflag_f32_e32 v1, v1
	s_sub_i32 s8, 0, s42
	s_mul_i32 s47, s22, s21
	s_mov_b32 s45, s21
	v_mul_f32_e32 v1, 0x4f7ffffe, v1
	v_cvt_u32_f32_e32 v1, v1
	s_or_b64 s[24:25], s[0:1], s[24:25]
	s_mul_i32 s0, s47, s36
	s_mul_hi_u32 s1, s47, s35
	v_mul_lo_u32 v2, s8, v1
	s_mul_hi_i32 s21, s22, s21
	s_add_i32 s0, s1, s0
	s_mul_i32 s1, s21, s35
	s_add_i32 s0, s0, s1
	s_mul_i32 s1, s47, s35
	v_mul_hi_u32 v2, v1, v2
	v_cvt_i32_f64_e32 v5, s[28:29]
	s_mul_i32 s28, s1, s34
	s_mul_hi_u32 s29, s1, s12
	v_cvt_i32_f64_e32 v6, s[30:31]
	s_add_i32 s28, s29, s28
	s_mul_i32 s0, s0, s12
	s_waitcnt lgkmcnt(0)
	s_and_b32 s46, s37, 0xffff
	s_add_i32 s28, s28, s0
	s_mul_i32 s1, s1, s12
	s_add_u32 s26, s26, s1
	s_mov_b32 s44, s9
	s_mov_b64 s[8:9], 0
	v_add_u32_e32 v7, v1, v2
	v_mov_b32_e32 v8, 0
	s_addc_u32 s27, s27, s28
	s_branch .LBB10_3
.LBB10_2:                               ;   in Loop: Header=BB10_3 Depth=1
	v_cvt_f32_i32_e32 v1, v1
	v_add_u32_e32 v0, s46, v0
	v_cmp_le_i32_e32 vcc, s33, v0
	s_or_b64 s[8:9], vcc, s[8:9]
	global_store_dword v[3:4], v1, off
	s_andn2_b64 exec, exec, s[8:9]
	s_cbranch_execz .LBB10_16
.LBB10_3:                               ; =>This Loop Header: Depth=1
                                        ;     Child Loop BB10_6 Depth 2
                                        ;       Child Loop BB10_9 Depth 3
                                        ;         Child Loop BB10_12 Depth 4
	v_sub_u32_e32 v1, 0, v0
	v_max_i32_e32 v1, v0, v1
	v_mul_hi_u32 v2, v1, v7
	v_ashrrev_i32_e32 v4, 31, v0
	v_xor_b32_e32 v4, s40, v4
	v_mul_lo_u32 v3, v2, s42
	v_add_u32_e32 v9, 1, v2
	v_sub_u32_e32 v1, v1, v3
	v_cmp_le_u32_e32 vcc, s42, v1
	v_subrev_u32_e32 v3, s42, v1
	v_cndmask_b32_e32 v2, v2, v9, vcc
	v_cndmask_b32_e32 v1, v1, v3, vcc
	v_add_u32_e32 v3, 1, v2
	v_cmp_le_u32_e32 vcc, s42, v1
	v_cndmask_b32_e32 v1, v2, v3, vcc
	v_xor_b32_e32 v1, v1, v4
	v_sub_u32_e32 v9, v1, v4
	v_mul_lo_u32 v1, v9, s14
	s_andn2_b64 vcc, exec, s[4:5]
	v_sub_u32_e32 v2, v0, v1
	v_mov_b32_e32 v1, 0
	s_cbranch_vccnz .LBB10_14
; %bb.4:                                ;   in Loop: Header=BB10_3 Depth=1
	v_mul_lo_u32 v1, v9, s15
	v_mul_lo_u32 v3, v2, s16
	s_mov_b32 s48, 0
	s_mov_b64 s[28:29], s[26:27]
	v_subrev_u32_e32 v10, s19, v1
	v_subrev_u32_e32 v11, s20, v3
	v_mov_b32_e32 v1, 0
	s_branch .LBB10_6
.LBB10_5:                               ;   in Loop: Header=BB10_6 Depth=2
	s_add_i32 s48, s48, 1
	s_add_u32 s28, s28, s47
	s_addc_u32 s29, s29, s21
	s_cmp_eq_u32 s48, s12
	s_cbranch_scc1 .LBB10_14
.LBB10_6:                               ;   Parent Loop BB10_3 Depth=1
                                        ; =>  This Loop Header: Depth=2
                                        ;       Child Loop BB10_9 Depth 3
                                        ;         Child Loop BB10_12 Depth 4
	s_andn2_b64 vcc, exec, s[6:7]
	s_cbranch_vccnz .LBB10_5
; %bb.7:                                ;   in Loop: Header=BB10_6 Depth=2
	s_mul_i32 s0, s48, s23
	s_mul_hi_u32 s1, s48, s43
	s_add_i32 s49, s1, s0
	s_mul_i32 s50, s48, s43
	s_mov_b32 s51, 0
	s_mov_b64 s[30:31], s[28:29]
	s_branch .LBB10_9
.LBB10_8:                               ;   in Loop: Header=BB10_9 Depth=3
	s_add_i32 s51, s51, 1
	s_add_u32 s30, s30, s22
	s_addc_u32 s31, s31, s39
	s_cmp_eq_u32 s51, s45
	s_cbranch_scc1 .LBB10_5
.LBB10_9:                               ;   Parent Loop BB10_3 Depth=1
                                        ;     Parent Loop BB10_6 Depth=2
                                        ; =>    This Loop Header: Depth=3
                                        ;         Child Loop BB10_12 Depth 4
	s_andn2_b64 vcc, exec, s[10:11]
	s_cbranch_vccnz .LBB10_8
; %bb.10:                               ;   in Loop: Header=BB10_9 Depth=3
	s_mul_i32 s0, s51, s17
	v_add_u32_e32 v12, s0, v10
	v_mov_b32_e32 v3, s49
	v_add_co_u32_e32 v13, vcc, s50, v12
	v_addc_co_u32_e32 v3, vcc, 0, v3, vcc
	v_mul_lo_u32 v15, v3, s44
	v_mov_b32_e32 v4, s3
	v_mov_b32_e32 v3, s2
	v_mul_lo_u32 v14, v13, s38
	v_mad_u64_u32 v[3:4], s[0:1], v13, s44, v[3:4]
	v_cmp_gt_i32_e32 vcc, 0, v12
	v_cmp_le_i32_e64 s[0:1], s43, v12
	s_or_b64 s[34:35], vcc, s[0:1]
	v_add3_u32 v4, v15, v4, v14
	v_mov_b32_e32 v12, v11
	s_mov_b64 s[36:37], s[30:31]
	s_mov_b32 s52, s22
	s_branch .LBB10_12
.LBB10_11:                              ;   in Loop: Header=BB10_12 Depth=4
	s_or_b64 exec, exec, s[0:1]
	s_add_i32 s52, s52, -1
	s_add_u32 s36, s36, 1
	s_addc_u32 s37, s37, 0
	s_cmp_eq_u32 s52, 0
	v_add_u32_e32 v12, s18, v12
	s_cbranch_scc1 .LBB10_8
.LBB10_12:                              ;   Parent Loop BB10_3 Depth=1
                                        ;     Parent Loop BB10_6 Depth=2
                                        ;       Parent Loop BB10_9 Depth=3
                                        ; =>      This Inner Loop Header: Depth=4
	v_cmp_gt_i32_e32 vcc, 0, v12
	v_cmp_le_i32_e64 s[0:1], s44, v12
	s_or_b64 s[0:1], vcc, s[0:1]
	s_nor_b64 s[54:55], s[34:35], s[0:1]
	s_and_saveexec_b64 s[0:1], s[54:55]
	s_cbranch_execz .LBB10_11
; %bb.13:                               ;   in Loop: Header=BB10_12 Depth=4
	v_add_co_u32_e32 v13, vcc, v3, v12
	v_addc_co_u32_e32 v14, vcc, 0, v4, vcc
	global_load_sbyte v13, v[13:14], off
	s_nop 0
	global_load_sbyte v14, v8, s[36:37]
	s_waitcnt vmcnt(0)
	v_mad_i32_i24 v1, v14, v13, v1
	s_branch .LBB10_11
.LBB10_14:                              ;   in Loop: Header=BB10_3 Depth=1
	v_mad_i64_i32 v[9:10], s[0:1], v9, s14, 0
	v_ashrrev_i32_e32 v3, 31, v2
	v_mov_b32_e32 v4, s41
	v_lshlrev_b64 v[9:10], 2, v[9:10]
	v_add_co_u32_e32 v9, vcc, s13, v9
	v_addc_co_u32_e32 v10, vcc, v4, v10, vcc
	v_lshlrev_b64 v[3:4], 2, v[2:3]
	s_andn2_b64 vcc, exec, s[24:25]
	v_add_co_u32_e64 v3, s[0:1], v9, v3
	v_addc_co_u32_e64 v4, s[0:1], v10, v4, s[0:1]
	s_cbranch_vccnz .LBB10_2
; %bb.15:                               ;   in Loop: Header=BB10_3 Depth=1
	global_load_dword v2, v[3:4], off
	v_mul_lo_u32 v1, v1, v5
	s_waitcnt vmcnt(0)
	v_cvt_i32_f32_e32 v2, v2
	v_mad_u64_u32 v[1:2], s[0:1], v2, v6, v[1:2]
	s_branch .LBB10_2
.LBB10_16:
	s_endpgm
	.section	.rodata,"a",@progbits
	.p2align	6, 0x0
	.amdhsa_kernel naive_conv_ab_packed_fwd_nchw_int8_t_int32_t_float
		.amdhsa_group_segment_fixed_size 0
		.amdhsa_private_segment_fixed_size 0
		.amdhsa_kernarg_size 480
		.amdhsa_user_sgpr_count 6
		.amdhsa_user_sgpr_private_segment_buffer 1
		.amdhsa_user_sgpr_dispatch_ptr 0
		.amdhsa_user_sgpr_queue_ptr 0
		.amdhsa_user_sgpr_kernarg_segment_ptr 1
		.amdhsa_user_sgpr_dispatch_id 0
		.amdhsa_user_sgpr_flat_scratch_init 0
		.amdhsa_user_sgpr_private_segment_size 0
		.amdhsa_uses_dynamic_stack 0
		.amdhsa_system_sgpr_private_segment_wavefront_offset 0
		.amdhsa_system_sgpr_workgroup_id_x 1
		.amdhsa_system_sgpr_workgroup_id_y 0
		.amdhsa_system_sgpr_workgroup_id_z 0
		.amdhsa_system_sgpr_workgroup_info 0
		.amdhsa_system_vgpr_workitem_id 0
		.amdhsa_next_free_vgpr 16
		.amdhsa_next_free_sgpr 56
		.amdhsa_reserve_vcc 1
		.amdhsa_reserve_flat_scratch 0
		.amdhsa_float_round_mode_32 0
		.amdhsa_float_round_mode_16_64 0
		.amdhsa_float_denorm_mode_32 3
		.amdhsa_float_denorm_mode_16_64 3
		.amdhsa_dx10_clamp 1
		.amdhsa_ieee_mode 1
		.amdhsa_fp16_overflow 0
		.amdhsa_exception_fp_ieee_invalid_op 0
		.amdhsa_exception_fp_denorm_src 0
		.amdhsa_exception_fp_ieee_div_zero 0
		.amdhsa_exception_fp_ieee_overflow 0
		.amdhsa_exception_fp_ieee_underflow 0
		.amdhsa_exception_fp_ieee_inexact 0
		.amdhsa_exception_int_div_zero 0
	.end_amdhsa_kernel
	.text
.Lfunc_end10:
	.size	naive_conv_ab_packed_fwd_nchw_int8_t_int32_t_float, .Lfunc_end10-naive_conv_ab_packed_fwd_nchw_int8_t_int32_t_float
                                        ; -- End function
	.set naive_conv_ab_packed_fwd_nchw_int8_t_int32_t_float.num_vgpr, 16
	.set naive_conv_ab_packed_fwd_nchw_int8_t_int32_t_float.num_agpr, 0
	.set naive_conv_ab_packed_fwd_nchw_int8_t_int32_t_float.numbered_sgpr, 56
	.set naive_conv_ab_packed_fwd_nchw_int8_t_int32_t_float.num_named_barrier, 0
	.set naive_conv_ab_packed_fwd_nchw_int8_t_int32_t_float.private_seg_size, 0
	.set naive_conv_ab_packed_fwd_nchw_int8_t_int32_t_float.uses_vcc, 1
	.set naive_conv_ab_packed_fwd_nchw_int8_t_int32_t_float.uses_flat_scratch, 0
	.set naive_conv_ab_packed_fwd_nchw_int8_t_int32_t_float.has_dyn_sized_stack, 0
	.set naive_conv_ab_packed_fwd_nchw_int8_t_int32_t_float.has_recursion, 0
	.set naive_conv_ab_packed_fwd_nchw_int8_t_int32_t_float.has_indirect_call, 0
	.section	.AMDGPU.csdata,"",@progbits
; Kernel info:
; codeLenInByte = 1300
; TotalNumSgprs: 60
; NumVgprs: 16
; ScratchSize: 0
; MemoryBound: 0
; FloatMode: 240
; IeeeMode: 1
; LDSByteSize: 0 bytes/workgroup (compile time only)
; SGPRBlocks: 7
; VGPRBlocks: 3
; NumSGPRsForWavesPerEU: 60
; NumVGPRsForWavesPerEU: 16
; Occupancy: 10
; WaveLimiterHint : 0
; COMPUTE_PGM_RSRC2:SCRATCH_EN: 0
; COMPUTE_PGM_RSRC2:USER_SGPR: 6
; COMPUTE_PGM_RSRC2:TRAP_HANDLER: 0
; COMPUTE_PGM_RSRC2:TGID_X_EN: 1
; COMPUTE_PGM_RSRC2:TGID_Y_EN: 0
; COMPUTE_PGM_RSRC2:TGID_Z_EN: 0
; COMPUTE_PGM_RSRC2:TIDIG_COMP_CNT: 0
	.text
	.protected	naive_conv_ab_nonpacked_fwd_nchw_int8_t_int32_t_float ; -- Begin function naive_conv_ab_nonpacked_fwd_nchw_int8_t_int32_t_float
	.globl	naive_conv_ab_nonpacked_fwd_nchw_int8_t_int32_t_float
	.p2align	8
	.type	naive_conv_ab_nonpacked_fwd_nchw_int8_t_int32_t_float,@function
naive_conv_ab_nonpacked_fwd_nchw_int8_t_int32_t_float: ; @naive_conv_ab_nonpacked_fwd_nchw_int8_t_int32_t_float
; %bb.0:
	s_load_dwordx8 s[24:31], s[4:5], 0xa0
	s_abs_i32 s7, s6
	s_waitcnt lgkmcnt(0)
	s_abs_i32 s1, s27
	v_cvt_f32_u32_e32 v1, s1
	s_sub_i32 s2, 0, s1
	s_mul_i32 s0, s27, s26
	s_mul_i32 s29, s30, s29
	v_rcp_iflag_f32_e32 v1, v1
	v_cmp_gt_i32_e32 vcc, s29, v0
	v_mul_f32_e32 v1, 0x4f7ffffe, v1
	v_cvt_u32_f32_e32 v1, v1
	v_readfirstlane_b32 s3, v1
	s_mul_i32 s2, s2, s3
	s_mul_hi_u32 s2, s3, s2
	s_add_i32 s3, s3, s2
	s_mul_hi_u32 s2, s7, s3
	s_mul_i32 s3, s2, s1
	s_sub_i32 s3, s7, s3
	s_add_i32 s8, s2, 1
	s_sub_i32 s9, s3, s1
	s_cmp_ge_u32 s3, s1
	s_cselect_b32 s2, s8, s2
	s_cselect_b32 s3, s9, s3
	s_add_i32 s8, s2, 1
	s_cmp_ge_u32 s3, s1
	s_cselect_b32 s1, s8, s2
	s_abs_i32 s33, s26
	s_abs_i32 s26, s0
	v_cvt_f32_u32_e32 v1, s33
	v_cvt_f32_u32_e32 v2, s26
	v_rcp_iflag_f32_e32 v1, v1
	v_rcp_iflag_f32_e32 v2, v2
	v_mul_f32_e32 v1, 0x4f7ffffe, v1
	v_mul_f32_e32 v2, 0x4f7ffffe, v2
	v_cvt_u32_f32_e32 v1, v1
	v_cvt_u32_f32_e32 v2, v2
	v_readfirstlane_b32 s3, v1
	v_readfirstlane_b32 s2, v2
	s_and_saveexec_b64 s[8:9], vcc
	s_cbranch_execz .LBB11_16
; %bb.1:
	s_ashr_i32 s44, s6, 31
	s_ashr_i32 s8, s27, 31
	s_xor_b32 s8, s44, s8
	s_xor_b32 s1, s1, s8
	s_sub_i32 s45, s1, s8
	s_sub_i32 s1, 0, s33
	s_mul_i32 s1, s1, s3
	s_mul_hi_u32 s1, s3, s1
	s_abs_i32 s47, s45
	s_add_i32 s3, s3, s1
	s_mul_hi_u32 s48, s47, s3
	s_ashr_i32 s49, s0, 31
	s_sub_i32 s0, 0, s26
	s_ashr_i32 s46, s45, 31
	s_mul_i32 s0, s0, s2
	s_mul_i32 s45, s45, s27
	s_mul_i32 s48, s48, s33
	s_mul_hi_u32 s0, s2, s0
	s_sub_i32 s27, s6, s45
	s_sub_i32 s6, s47, s48
	s_add_i32 s2, s2, s0
	s_sub_i32 s45, s6, s33
	s_cmp_ge_u32 s6, s33
	s_cselect_b32 s6, s45, s6
	s_sub_i32 s45, s6, s33
	s_mul_hi_u32 s50, s7, s2
	s_cmp_ge_u32 s6, s33
	s_cselect_b32 s6, s45, s6
	s_xor_b32 s33, s44, s49
	s_mul_i32 s44, s50, s26
	s_xor_b32 s6, s6, s46
	s_sub_i32 s7, s7, s44
	s_sub_i32 s6, s6, s46
	s_add_i32 s44, s50, 1
	s_sub_i32 s45, s7, s26
	s_cmp_ge_u32 s7, s26
	s_cselect_b32 s44, s44, s50
	s_cselect_b32 s7, s45, s7
	s_add_i32 s45, s44, 1
	s_cmp_ge_u32 s7, s26
	s_cselect_b32 s7, s45, s44
	s_load_dwordx16 s[8:23], s[4:5], 0x28
	s_load_dwordx2 s[34:35], s[4:5], 0x98
	s_load_dwordx4 s[0:3], s[4:5], 0x88
	s_load_dwordx8 s[36:43], s[4:5], 0x68
	s_xor_b32 s7, s7, s33
	s_sub_i32 s26, s7, s33
	s_ashr_i32 s7, s6, 31
	s_waitcnt lgkmcnt(0)
	s_mul_i32 s33, s16, s7
	s_mul_hi_u32 s44, s16, s6
	s_load_dwordx8 s[52:59], s[4:5], 0x0
	s_add_i32 s33, s44, s33
	s_mul_i32 s17, s17, s6
	s_add_i32 s33, s33, s17
	s_ashr_i32 s17, s26, 31
	s_mul_i32 s44, s14, s17
	s_mul_hi_u32 s45, s14, s26
	s_add_i32 s44, s45, s44
	s_mul_i32 s15, s15, s26
	s_mul_i32 s16, s16, s6
	s_add_i32 s44, s44, s15
	s_waitcnt lgkmcnt(0)
	s_add_u32 s15, s52, s16
	s_mul_i32 s14, s14, s26
	s_addc_u32 s16, s53, s33
	s_add_u32 s33, s15, s14
	s_mul_i32 s14, s38, s17
	s_mul_hi_u32 s15, s38, s26
	s_addc_u32 s60, s16, s44
	s_add_i32 s14, s15, s14
	s_mul_i32 s15, s39, s26
	s_ashr_i32 s16, s27, 31
	s_add_i32 s39, s14, s15
	s_mul_i32 s14, s36, s16
	s_mul_hi_u32 s15, s36, s27
	s_add_i32 s14, s15, s14
	s_mul_i32 s15, s37, s27
	s_add_i32 s37, s14, s15
	s_mul_i32 s7, s34, s7
	s_mul_hi_u32 s14, s34, s6
	s_add_i32 s7, s14, s7
	s_mul_i32 s35, s35, s6
	s_mul_i32 s6, s34, s6
	s_load_dwordx2 s[14:15], s[4:5], 0x20
	s_mul_i32 s17, s2, s17
	s_mul_hi_u32 s34, s2, s26
	s_add_i32 s17, s34, s17
	s_mul_i32 s3, s3, s26
	s_add_i32 s3, s17, s3
	s_mul_i32 s16, s0, s16
	s_mul_hi_u32 s17, s0, s27
	s_add_i32 s7, s7, s35
	s_add_i32 s16, s17, s16
	s_mul_i32 s1, s1, s27
	s_add_i32 s1, s16, s1
	s_lshl_b64 s[6:7], s[6:7], 2
	s_mul_i32 s2, s2, s26
	s_waitcnt lgkmcnt(0)
	s_add_u32 s6, s14, s6
	s_addc_u32 s7, s15, s7
	s_lshl_b64 s[2:3], s[2:3], 2
	s_mul_i32 s0, s0, s27
	s_add_u32 s2, s6, s2
	s_load_dwordx8 s[44:51], s[4:5], 0xc0
	s_addc_u32 s3, s7, s3
	s_lshl_b64 s[0:1], s[0:1], 2
	s_waitcnt lgkmcnt(0)
	s_add_u32 s51, s2, s0
	s_addc_u32 s61, s3, s1
	s_cmp_gt_i32 s28, 0
	s_cselect_b64 s[2:3], -1, 0
	s_cmp_gt_i32 s49, 0
	s_cselect_b64 s[6:7], -1, 0
	s_cmp_gt_i32 s50, 0
	v_cmp_neq_f64_e64 s[0:1], s[56:57], 1.0
	v_cmp_neq_f64_e64 s[16:17], s[58:59], 0
	s_cselect_b64 s[14:15], -1, 0
	s_abs_i32 s64, s30
	v_cvt_f32_u32_e32 v1, s64
	s_ashr_i32 s63, s30, 31
	v_cvt_i32_f64_e32 v5, s[56:57]
	v_cvt_i32_f64_e32 v6, s[58:59]
	v_rcp_iflag_f32_e32 v1, v1
	s_or_b64 s[16:17], s[0:1], s[16:17]
	s_load_dword s0, s[4:5], 0xec
	s_mul_i32 s1, s38, s26
	v_mul_f32_e32 v1, 0x4f7ffffe, v1
	v_cvt_u32_f32_e32 v1, v1
	s_mul_i32 s4, s36, s27
	s_waitcnt lgkmcnt(0)
	s_and_b32 s62, s0, 0xffff
	s_sub_i32 s0, 0, s64
	v_mul_lo_u32 v2, s0, v1
	s_add_u32 s1, s4, s1
	s_addc_u32 s5, s37, s39
	s_add_u32 s4, s54, s1
	v_mul_hi_u32 v2, v1, v2
	s_addc_u32 s5, s55, s5
	s_mov_b64 s[26:27], 0
	v_mov_b32_e32 v8, 0
	v_add_u32_e32 v7, v1, v2
	s_branch .LBB11_3
.LBB11_2:                               ;   in Loop: Header=BB11_3 Depth=1
	v_cvt_f32_i32_e32 v1, v1
	v_add_u32_e32 v0, s62, v0
	v_cmp_le_i32_e32 vcc, s29, v0
	s_or_b64 s[26:27], vcc, s[26:27]
	global_store_dword v[3:4], v1, off
	s_andn2_b64 exec, exec, s[26:27]
	s_cbranch_execz .LBB11_16
.LBB11_3:                               ; =>This Loop Header: Depth=1
                                        ;     Child Loop BB11_6 Depth 2
                                        ;       Child Loop BB11_9 Depth 3
                                        ;         Child Loop BB11_12 Depth 4
	v_sub_u32_e32 v1, 0, v0
	v_max_i32_e32 v1, v0, v1
	v_mul_hi_u32 v2, v1, v7
	v_ashrrev_i32_e32 v4, 31, v0
	v_xor_b32_e32 v4, s63, v4
	v_mul_lo_u32 v3, v2, s64
	v_add_u32_e32 v9, 1, v2
	v_sub_u32_e32 v1, v1, v3
	v_cmp_le_u32_e32 vcc, s64, v1
	v_subrev_u32_e32 v3, s64, v1
	v_cndmask_b32_e32 v2, v2, v9, vcc
	v_cndmask_b32_e32 v1, v1, v3, vcc
	v_add_u32_e32 v3, 1, v2
	v_cmp_le_u32_e32 vcc, s64, v1
	v_cndmask_b32_e32 v1, v2, v3, vcc
	v_xor_b32_e32 v1, v1, v4
	v_sub_u32_e32 v9, v1, v4
	v_mul_lo_u32 v1, v9, s30
	s_andn2_b64 vcc, exec, s[2:3]
	v_sub_u32_e32 v4, v0, v1
	v_mov_b32_e32 v1, 0
	s_cbranch_vccnz .LBB11_14
; %bb.4:                                ;   in Loop: Header=BB11_3 Depth=1
	v_mul_lo_u32 v1, v9, s31
	v_mul_lo_u32 v2, v4, s44
	s_mov_b32 s56, 0
	s_mov_b64 s[34:35], s[4:5]
	v_subrev_u32_e32 v10, s47, v1
	v_subrev_u32_e32 v11, s48, v2
	v_mov_b32_e32 v1, 0
	s_branch .LBB11_6
.LBB11_5:                               ;   in Loop: Header=BB11_6 Depth=2
	s_add_i32 s56, s56, 1
	s_add_u32 s34, s34, s22
	s_addc_u32 s35, s35, s23
	s_cmp_eq_u32 s56, s28
	s_cbranch_scc1 .LBB11_14
.LBB11_6:                               ;   Parent Loop BB11_3 Depth=1
                                        ; =>  This Loop Header: Depth=2
                                        ;       Child Loop BB11_9 Depth 3
                                        ;         Child Loop BB11_12 Depth 4
	s_andn2_b64 vcc, exec, s[6:7]
	s_cbranch_vccnz .LBB11_5
; %bb.7:                                ;   in Loop: Header=BB11_6 Depth=2
	s_mul_i32 s0, s13, s56
	s_mul_hi_u32 s1, s12, s56
	s_add_i32 s1, s1, s0
	s_mul_i32 s0, s12, s56
	s_add_u32 s36, s33, s0
	s_addc_u32 s37, s60, s1
	s_mov_b32 s57, 0
	s_mov_b64 s[38:39], s[34:35]
	s_branch .LBB11_9
.LBB11_8:                               ;   in Loop: Header=BB11_9 Depth=3
	s_add_i32 s57, s57, 1
	s_add_u32 s38, s38, s20
	s_addc_u32 s39, s39, s21
	s_cmp_eq_u32 s57, s49
	s_cbranch_scc1 .LBB11_5
.LBB11_9:                               ;   Parent Loop BB11_3 Depth=1
                                        ;     Parent Loop BB11_6 Depth=2
                                        ; =>    This Loop Header: Depth=3
                                        ;         Child Loop BB11_12 Depth 4
	s_andn2_b64 vcc, exec, s[14:15]
	s_cbranch_vccnz .LBB11_8
; %bb.10:                               ;   in Loop: Header=BB11_9 Depth=3
	s_mul_i32 s0, s57, s45
	v_mov_b32_e32 v2, s36
	v_add_u32_e32 v14, s0, v10
	v_mov_b32_e32 v3, s37
	v_mad_u64_u32 v[2:3], s[0:1], s10, v14, v[2:3]
	v_cmp_gt_i32_e32 vcc, 0, v14
	s_mov_b64 s[54:55], s[38:39]
	v_mad_u64_u32 v[12:13], s[0:1], s11, v14, v[3:4]
	v_cmp_le_i32_e64 s[0:1], s24, v14
	s_or_b64 s[52:53], vcc, s[0:1]
	v_mov_b32_e32 v3, v12
	v_mov_b32_e32 v12, v11
	s_mov_b32 s58, s50
	s_branch .LBB11_12
.LBB11_11:                              ;   in Loop: Header=BB11_12 Depth=4
	s_or_b64 exec, exec, s[0:1]
	s_add_i32 s58, s58, -1
	s_add_u32 s54, s54, s18
	s_addc_u32 s55, s55, s19
	s_cmp_eq_u32 s58, 0
	v_add_u32_e32 v12, s46, v12
	s_cbranch_scc1 .LBB11_8
.LBB11_12:                              ;   Parent Loop BB11_3 Depth=1
                                        ;     Parent Loop BB11_6 Depth=2
                                        ;       Parent Loop BB11_9 Depth=3
                                        ; =>      This Inner Loop Header: Depth=4
	v_cmp_gt_i32_e32 vcc, 0, v12
	v_cmp_le_i32_e64 s[0:1], s25, v12
	s_or_b64 s[0:1], vcc, s[0:1]
	s_nor_b64 s[66:67], s[52:53], s[0:1]
	s_and_saveexec_b64 s[0:1], s[66:67]
	s_cbranch_execz .LBB11_11
; %bb.13:                               ;   in Loop: Header=BB11_12 Depth=4
	v_mad_u64_u32 v[13:14], s[66:67], s8, v12, v[2:3]
	v_mad_u64_u32 v[14:15], s[66:67], s9, v12, v[14:15]
	global_load_sbyte v13, v[13:14], off
	s_nop 0
	global_load_sbyte v14, v8, s[54:55]
	s_waitcnt vmcnt(0)
	v_mad_i32_i24 v1, v14, v13, v1
	s_branch .LBB11_11
.LBB11_14:                              ;   in Loop: Header=BB11_3 Depth=1
	v_ashrrev_i32_e32 v2, 31, v9
	v_mul_lo_u32 v11, s43, v9
	v_mul_lo_u32 v12, s42, v2
	v_mad_u64_u32 v[2:3], s[0:1], s42, v9, 0
	v_ashrrev_i32_e32 v9, 31, v4
	v_mul_lo_u32 v13, s41, v4
	v_mul_lo_u32 v14, s40, v9
	v_mad_u64_u32 v[9:10], s[0:1], s40, v4, 0
	v_add3_u32 v3, v3, v12, v11
	v_mov_b32_e32 v4, s61
	v_add3_u32 v10, v10, v14, v13
	v_lshlrev_b64 v[9:10], 2, v[9:10]
	v_add_co_u32_e32 v9, vcc, s51, v9
	v_addc_co_u32_e32 v10, vcc, v4, v10, vcc
	v_lshlrev_b64 v[3:4], 2, v[2:3]
	s_andn2_b64 vcc, exec, s[16:17]
	v_add_co_u32_e64 v3, s[0:1], v9, v3
	v_addc_co_u32_e64 v4, s[0:1], v10, v4, s[0:1]
	s_cbranch_vccnz .LBB11_2
; %bb.15:                               ;   in Loop: Header=BB11_3 Depth=1
	global_load_dword v2, v[3:4], off
	v_mul_lo_u32 v1, v1, v5
	s_waitcnt vmcnt(0)
	v_cvt_i32_f32_e32 v2, v2
	v_mad_u64_u32 v[1:2], s[0:1], v2, v6, v[1:2]
	s_branch .LBB11_2
.LBB11_16:
	s_endpgm
	.section	.rodata,"a",@progbits
	.p2align	6, 0x0
	.amdhsa_kernel naive_conv_ab_nonpacked_fwd_nchw_int8_t_int32_t_float
		.amdhsa_group_segment_fixed_size 0
		.amdhsa_private_segment_fixed_size 0
		.amdhsa_kernarg_size 480
		.amdhsa_user_sgpr_count 6
		.amdhsa_user_sgpr_private_segment_buffer 1
		.amdhsa_user_sgpr_dispatch_ptr 0
		.amdhsa_user_sgpr_queue_ptr 0
		.amdhsa_user_sgpr_kernarg_segment_ptr 1
		.amdhsa_user_sgpr_dispatch_id 0
		.amdhsa_user_sgpr_flat_scratch_init 0
		.amdhsa_user_sgpr_private_segment_size 0
		.amdhsa_uses_dynamic_stack 0
		.amdhsa_system_sgpr_private_segment_wavefront_offset 0
		.amdhsa_system_sgpr_workgroup_id_x 1
		.amdhsa_system_sgpr_workgroup_id_y 0
		.amdhsa_system_sgpr_workgroup_id_z 0
		.amdhsa_system_sgpr_workgroup_info 0
		.amdhsa_system_vgpr_workitem_id 0
		.amdhsa_next_free_vgpr 16
		.amdhsa_next_free_sgpr 68
		.amdhsa_reserve_vcc 1
		.amdhsa_reserve_flat_scratch 0
		.amdhsa_float_round_mode_32 0
		.amdhsa_float_round_mode_16_64 0
		.amdhsa_float_denorm_mode_32 3
		.amdhsa_float_denorm_mode_16_64 3
		.amdhsa_dx10_clamp 1
		.amdhsa_ieee_mode 1
		.amdhsa_fp16_overflow 0
		.amdhsa_exception_fp_ieee_invalid_op 0
		.amdhsa_exception_fp_denorm_src 0
		.amdhsa_exception_fp_ieee_div_zero 0
		.amdhsa_exception_fp_ieee_overflow 0
		.amdhsa_exception_fp_ieee_underflow 0
		.amdhsa_exception_fp_ieee_inexact 0
		.amdhsa_exception_int_div_zero 0
	.end_amdhsa_kernel
	.text
.Lfunc_end11:
	.size	naive_conv_ab_nonpacked_fwd_nchw_int8_t_int32_t_float, .Lfunc_end11-naive_conv_ab_nonpacked_fwd_nchw_int8_t_int32_t_float
                                        ; -- End function
	.set naive_conv_ab_nonpacked_fwd_nchw_int8_t_int32_t_float.num_vgpr, 16
	.set naive_conv_ab_nonpacked_fwd_nchw_int8_t_int32_t_float.num_agpr, 0
	.set naive_conv_ab_nonpacked_fwd_nchw_int8_t_int32_t_float.numbered_sgpr, 68
	.set naive_conv_ab_nonpacked_fwd_nchw_int8_t_int32_t_float.num_named_barrier, 0
	.set naive_conv_ab_nonpacked_fwd_nchw_int8_t_int32_t_float.private_seg_size, 0
	.set naive_conv_ab_nonpacked_fwd_nchw_int8_t_int32_t_float.uses_vcc, 1
	.set naive_conv_ab_nonpacked_fwd_nchw_int8_t_int32_t_float.uses_flat_scratch, 0
	.set naive_conv_ab_nonpacked_fwd_nchw_int8_t_int32_t_float.has_dyn_sized_stack, 0
	.set naive_conv_ab_nonpacked_fwd_nchw_int8_t_int32_t_float.has_recursion, 0
	.set naive_conv_ab_nonpacked_fwd_nchw_int8_t_int32_t_float.has_indirect_call, 0
	.section	.AMDGPU.csdata,"",@progbits
; Kernel info:
; codeLenInByte = 1412
; TotalNumSgprs: 72
; NumVgprs: 16
; ScratchSize: 0
; MemoryBound: 0
; FloatMode: 240
; IeeeMode: 1
; LDSByteSize: 0 bytes/workgroup (compile time only)
; SGPRBlocks: 8
; VGPRBlocks: 3
; NumSGPRsForWavesPerEU: 72
; NumVGPRsForWavesPerEU: 16
; Occupancy: 10
; WaveLimiterHint : 0
; COMPUTE_PGM_RSRC2:SCRATCH_EN: 0
; COMPUTE_PGM_RSRC2:USER_SGPR: 6
; COMPUTE_PGM_RSRC2:TRAP_HANDLER: 0
; COMPUTE_PGM_RSRC2:TGID_X_EN: 1
; COMPUTE_PGM_RSRC2:TGID_Y_EN: 0
; COMPUTE_PGM_RSRC2:TGID_Z_EN: 0
; COMPUTE_PGM_RSRC2:TIDIG_COMP_CNT: 0
	.text
	.protected	naive_conv_ab_packed_fwd_nhwc_float_double_float ; -- Begin function naive_conv_ab_packed_fwd_nhwc_float_double_float
	.globl	naive_conv_ab_packed_fwd_nhwc_float_double_float
	.p2align	8
	.type	naive_conv_ab_packed_fwd_nhwc_float_double_float,@function
naive_conv_ab_packed_fwd_nhwc_float_double_float: ; @naive_conv_ab_packed_fwd_nhwc_float_double_float
; %bb.0:
	s_load_dwordx16 s[8:23], s[4:5], 0xa0
	s_abs_i32 s1, s6
	s_waitcnt lgkmcnt(0)
	s_abs_i32 s0, s13
	v_cvt_f32_u32_e32 v1, s0
	s_sub_i32 s2, 0, s0
	v_rcp_iflag_f32_e32 v1, v1
	v_mul_f32_e32 v1, 0x4f7ffffe, v1
	v_cvt_u32_f32_e32 v1, v1
	v_readfirstlane_b32 s3, v1
	s_mul_i32 s2, s2, s3
	s_mul_hi_u32 s2, s3, s2
	s_add_i32 s3, s3, s2
	s_mul_hi_u32 s2, s1, s3
	s_mul_i32 s3, s2, s0
	s_sub_i32 s1, s1, s3
	s_add_i32 s7, s2, 1
	s_sub_i32 s3, s1, s0
	s_cmp_ge_u32 s1, s0
	s_cselect_b32 s2, s7, s2
	s_cselect_b32 s1, s3, s1
	s_add_i32 s3, s2, 1
	s_cmp_ge_u32 s1, s0
	s_cselect_b32 s1, s3, s2
	s_abs_i32 s0, s10
	v_cvt_f32_u32_e32 v1, s0
	s_mul_i32 s10, s23, s11
	s_mul_i32 s33, s10, s14
	v_cmp_gt_i32_e32 vcc, s33, v0
	v_rcp_iflag_f32_e32 v1, v1
	v_mul_f32_e32 v1, 0x4f7ffffe, v1
	v_cvt_u32_f32_e32 v1, v1
	v_readfirstlane_b32 s2, v1
	s_and_saveexec_b64 s[24:25], vcc
	s_cbranch_execz .LBB12_18
; %bb.1:
	s_xor_b32 s3, s6, s13
	s_ashr_i32 s3, s3, 31
	s_sub_i32 s36, 0, s0
	s_xor_b32 s1, s1, s3
	s_mul_i32 s36, s36, s2
	s_sub_i32 s1, s1, s3
	s_mul_hi_u32 s36, s2, s36
	s_abs_i32 s7, s1
	s_add_i32 s2, s2, s36
	s_mul_hi_u32 s2, s7, s2
	s_ashr_i32 s3, s1, 31
	s_mul_i32 s1, s1, s13
	s_mul_i32 s2, s2, s0
	s_sub_i32 s6, s6, s1
	s_sub_i32 s1, s7, s2
	;; [unrolled: 1-line block ×3, first 2 shown]
	s_cmp_ge_u32 s1, s0
	s_cselect_b32 s1, s2, s1
	s_sub_i32 s2, s1, s0
	s_cmp_ge_u32 s1, s0
	s_cselect_b32 s0, s2, s1
	s_xor_b32 s0, s0, s3
	s_mul_i32 s23, s23, s12
	s_sub_i32 s38, s0, s3
	s_ashr_i32 s39, s38, 31
	s_ashr_i32 s48, s9, 31
	;; [unrolled: 1-line block ×3, first 2 shown]
	s_mul_i32 s1, s38, s13
	s_ashr_i32 s51, s10, 31
	s_ashr_i32 s2, s6, 31
	s_mul_hi_i32 s0, s38, s13
	s_add_u32 s3, s1, s6
	s_load_dwordx8 s[24:31], s[4:5], 0x0
	s_load_dwordx2 s[34:35], s[4:5], 0x20
	s_addc_u32 s0, s0, s2
	s_mul_hi_i32 s1, s10, s14
	s_mul_i32 s0, s33, s0
	s_mul_hi_u32 s2, s33, s3
	s_add_i32 s0, s2, s0
	s_mul_i32 s1, s1, s3
	s_add_i32 s1, s0, s1
	s_mul_i32 s0, s33, s3
	s_lshl_b64 s[0:1], s[0:1], 2
	s_waitcnt lgkmcnt(0)
	s_add_u32 s52, s34, s0
	s_addc_u32 s53, s35, s1
	s_cmp_lt_i32 s21, 1
	s_mul_i32 s6, s6, s15
	s_cselect_b64 s[2:3], -1, 0
	s_sub_i32 s19, s6, s19
	s_cmp_gt_i32 s22, 0
	s_load_dword s36, s[4:5], 0xec
	s_cselect_b64 s[4:5], -1, 0
	s_cmp_gt_i32 s12, 0
	s_cselect_b64 s[6:7], -1, 0
	s_abs_i32 s55, s10
	v_cvt_f32_u32_e32 v1, s55
	s_abs_i32 s56, s11
	v_cvt_f32_u32_e32 v2, s56
	v_cmp_neq_f64_e64 s[0:1], s[28:29], 1.0
	v_rcp_iflag_f32_e32 v1, v1
	v_cmp_neq_f64_e64 s[34:35], s[30:31], 0
	v_rcp_iflag_f32_e32 v2, v2
	s_sub_i32 s14, 0, s55
	v_mul_f32_e32 v1, 0x4f7ffffe, v1
	v_cvt_u32_f32_e32 v1, v1
	v_mul_f32_e32 v2, 0x4f7ffffe, v2
	v_cvt_u32_f32_e32 v2, v2
	s_mov_b32 s49, s9
	s_ashr_i32 s13, s12, 31
	v_mul_lo_u32 v3, s14, v1
	s_sub_i32 s14, 0, s56
	s_or_b64 s[34:35], s[0:1], s[34:35]
	s_mul_hi_i32 s0, s9, s8
	s_mul_i32 s9, s9, s8
	v_mul_lo_u32 v4, s14, v2
	s_waitcnt lgkmcnt(0)
	s_and_b32 s58, s36, 0xffff
	s_lshl_b64 s[36:37], s[12:13], 2
	s_mul_i32 s1, s9, s39
	s_mul_hi_u32 s13, s9, s38
	s_add_i32 s1, s13, s1
	s_mul_i32 s0, s0, s38
	s_add_i32 s1, s1, s0
	s_mul_i32 s0, s9, s38
	s_ashr_i32 s40, s21, 31
	s_lshl_b64 s[38:39], s[0:1], 2
	s_mul_i32 s0, s22, s12
	v_mul_hi_u32 v3, v1, v3
	v_mul_hi_u32 v4, v2, v4
	s_mul_i32 s1, s0, s40
	s_mul_hi_u32 s9, s0, s21
	s_add_i32 s9, s9, s1
	s_mul_hi_i32 s1, s22, s12
	s_mul_i32 s13, s1, s21
	s_add_i32 s41, s9, s13
	s_mul_i32 s40, s0, s21
	s_ashr_i32 s54, s11, 31
	s_mov_b32 s57, s11
	s_mov_b64 s[14:15], 0
	v_add_u32_e32 v17, v1, v3
	v_add_u32_e32 v18, v2, v4
	s_lshl_b64 s[40:41], s[40:41], 2
	s_lshl_b64 s[42:43], s[0:1], 2
	s_branch .LBB12_3
.LBB12_2:                               ;   in Loop: Header=BB12_3 Depth=1
	v_cvt_f32_f64_e32 v3, v[5:6]
	v_add_u32_e32 v0, s58, v0
	v_cmp_le_i32_e32 vcc, s33, v0
	s_or_b64 s[14:15], vcc, s[14:15]
	global_store_dword v[1:2], v3, off
	s_andn2_b64 exec, exec, s[14:15]
	s_cbranch_execz .LBB12_18
.LBB12_3:                               ; =>This Loop Header: Depth=1
                                        ;     Child Loop BB12_8 Depth 2
                                        ;       Child Loop BB12_11 Depth 3
                                        ;         Child Loop BB12_14 Depth 4
	v_sub_u32_e32 v1, 0, v0
	v_max_i32_e32 v1, v0, v1
	v_mul_hi_u32 v2, v1, v17
	v_ashrrev_i32_e32 v4, 31, v0
	v_xor_b32_e32 v4, s51, v4
	s_mov_b64 s[0:1], -1
	v_mul_lo_u32 v3, v2, s55
	v_add_u32_e32 v5, 1, v2
	v_sub_u32_e32 v1, v1, v3
	v_cmp_le_u32_e32 vcc, s55, v1
	v_subrev_u32_e32 v3, s55, v1
	v_cndmask_b32_e32 v2, v2, v5, vcc
	v_cndmask_b32_e32 v1, v1, v3, vcc
	v_add_u32_e32 v3, 1, v2
	v_cmp_le_u32_e32 vcc, s55, v1
	v_cndmask_b32_e32 v1, v2, v3, vcc
	v_xor_b32_e32 v1, v1, v4
	v_sub_u32_e32 v19, v1, v4
	v_mul_lo_u32 v1, v19, s10
	v_sub_u32_e32 v9, v0, v1
	v_sub_u32_e32 v1, 0, v9
	v_max_i32_e32 v1, v9, v1
	v_mul_hi_u32 v2, v1, v18
	v_ashrrev_i32_e32 v10, 31, v9
	v_xor_b32_e32 v4, s54, v10
	v_mul_lo_u32 v3, v2, s56
	v_add_u32_e32 v5, 1, v2
	v_sub_u32_e32 v1, v1, v3
	v_cmp_le_u32_e32 vcc, s56, v1
	v_subrev_u32_e32 v3, s56, v1
	v_cndmask_b32_e32 v2, v2, v5, vcc
	v_cndmask_b32_e32 v1, v1, v3, vcc
	v_add_u32_e32 v3, 1, v2
	v_cmp_le_u32_e32 vcc, s56, v1
	v_cndmask_b32_e32 v1, v2, v3, vcc
	v_xor_b32_e32 v1, v1, v4
	v_sub_u32_e32 v12, v1, v4
	v_mul_lo_u32 v11, v12, s11
	s_andn2_b64 vcc, exec, s[2:3]
                                        ; implicit-def: $vgpr3_vgpr4
	v_sub_u32_e32 v1, v9, v11
	v_ashrrev_i32_e32 v2, 31, v1
	s_cbranch_vccnz .LBB12_5
; %bb.4:                                ;   in Loop: Header=BB12_3 Depth=1
	v_mad_i64_i32 v[3:4], s[0:1], v12, s57, 0
	s_mov_b64 s[0:1], 0
.LBB12_5:                               ;   in Loop: Header=BB12_3 Depth=1
	v_mov_b32_e32 v5, 0
	v_mov_b32_e32 v6, 0
	s_andn2_b64 vcc, exec, s[0:1]
	s_cbranch_vccnz .LBB12_16
; %bb.6:                                ;   in Loop: Header=BB12_3 Depth=1
	v_mad_i64_i32 v[3:4], s[0:1], v12, s57, 0
	v_mov_b32_e32 v5, s24
	v_mov_b32_e32 v6, s25
	v_mad_u64_u32 v[7:8], s[0:1], s36, v12, v[5:6]
	v_add_co_u32_e32 v5, vcc, v3, v9
	v_addc_co_u32_e32 v6, vcc, v4, v10, vcc
	v_ashrrev_i32_e32 v9, 31, v11
	v_sub_co_u32_e32 v10, vcc, v5, v11
	v_subb_co_u32_e32 v5, vcc, v6, v9, vcc
	v_mul_lo_u32 v11, s40, v5
	v_mov_b32_e32 v5, s26
	v_ashrrev_i32_e32 v14, 31, v12
	v_mov_b32_e32 v6, s27
	v_mul_lo_u32 v13, v19, s16
	v_mul_lo_u32 v12, s37, v12
	;; [unrolled: 1-line block ×4, first 2 shown]
	v_mad_u64_u32 v[9:10], s[0:1], s40, v10, v[5:6]
	v_mov_b32_e32 v5, 0
	v_subrev_u32_e32 v20, s20, v13
	v_add3_u32 v8, v12, v8, v14
	v_add3_u32 v10, v15, v10, v11
	s_mov_b32 s9, 0
	v_mov_b32_e32 v6, 0
	s_mov_b32 s13, s19
	s_branch .LBB12_8
.LBB12_7:                               ;   in Loop: Header=BB12_8 Depth=2
	s_add_i32 s9, s9, 1
	s_add_i32 s13, s13, s17
	v_mov_b32_e32 v11, s43
	v_add_co_u32_e32 v9, vcc, s42, v9
	s_cmp_eq_u32 s9, s21
	v_addc_co_u32_e32 v10, vcc, v10, v11, vcc
	s_cbranch_scc1 .LBB12_16
.LBB12_8:                               ;   Parent Loop BB12_3 Depth=1
                                        ; =>  This Loop Header: Depth=2
                                        ;       Child Loop BB12_11 Depth 3
                                        ;         Child Loop BB12_14 Depth 4
	s_andn2_b64 vcc, exec, s[4:5]
	s_cbranch_vccnz .LBB12_7
; %bb.9:                                ;   in Loop: Header=BB12_8 Depth=2
	s_mul_i32 s0, s48, s13
	s_mul_hi_u32 s1, s49, s13
	s_add_i32 s59, s1, s0
	s_mul_i32 s0, s9, s17
	s_add_i32 s44, s0, s19
	s_cmp_lt_i32 s44, 0
	s_cselect_b64 s[0:1], -1, 0
	s_cmp_ge_i32 s44, s8
	s_cselect_b64 s[44:45], -1, 0
	v_mov_b32_e32 v12, v10
	s_mul_i32 s60, s49, s13
	s_mov_b32 s61, 0
	s_or_b64 s[44:45], s[0:1], s[44:45]
	v_mov_b32_e32 v11, v9
	v_mov_b32_e32 v21, v20
	s_branch .LBB12_11
.LBB12_10:                              ;   in Loop: Header=BB12_11 Depth=3
	s_add_i32 s61, s61, 1
	v_mov_b32_e32 v13, s37
	v_add_co_u32_e32 v11, vcc, s36, v11
	v_add_u32_e32 v21, s18, v21
	s_cmp_eq_u32 s61, s22
	v_addc_co_u32_e32 v12, vcc, v12, v13, vcc
	s_cbranch_scc1 .LBB12_7
.LBB12_11:                              ;   Parent Loop BB12_3 Depth=1
                                        ;     Parent Loop BB12_8 Depth=2
                                        ; =>    This Loop Header: Depth=3
                                        ;         Child Loop BB12_14 Depth 4
	s_andn2_b64 vcc, exec, s[6:7]
	s_cbranch_vccnz .LBB12_10
; %bb.12:                               ;   in Loop: Header=BB12_11 Depth=3
	v_mov_b32_e32 v14, s59
	v_add_co_u32_e32 v13, vcc, s60, v21
	v_addc_co_u32_e32 v14, vcc, 0, v14, vcc
	v_lshlrev_b64 v[13:14], 2, v[13:14]
	v_mov_b32_e32 v15, s39
	v_add_co_u32_e32 v13, vcc, s38, v13
	v_addc_co_u32_e32 v14, vcc, v15, v14, vcc
	v_mul_lo_u32 v15, s23, v14
	v_mul_lo_u32 v16, s50, v13
	v_mad_u64_u32 v[13:14], s[0:1], s23, v13, v[7:8]
	s_mul_i32 s0, s61, s18
	s_mov_b32 s62, s12
	v_add3_u32 v14, v16, v14, v15
	v_add_u32_e32 v15, s0, v20
	v_cmp_gt_i32_e32 vcc, 0, v15
	v_cmp_le_i32_e64 s[0:1], s49, v15
	s_or_b64 s[0:1], vcc, s[0:1]
	v_mov_b32_e32 v16, v12
	s_nor_b64 s[0:1], s[44:45], s[0:1]
	v_mov_b32_e32 v15, v11
	s_branch .LBB12_14
.LBB12_13:                              ;   in Loop: Header=BB12_14 Depth=4
	s_or_b64 exec, exec, s[46:47]
	v_add_co_u32_e32 v13, vcc, 4, v13
	v_addc_co_u32_e32 v14, vcc, 0, v14, vcc
	s_add_i32 s62, s62, -1
	v_add_co_u32_e32 v15, vcc, 4, v15
	s_cmp_eq_u32 s62, 0
	v_addc_co_u32_e32 v16, vcc, 0, v16, vcc
	s_cbranch_scc1 .LBB12_10
.LBB12_14:                              ;   Parent Loop BB12_3 Depth=1
                                        ;     Parent Loop BB12_8 Depth=2
                                        ;       Parent Loop BB12_11 Depth=3
                                        ; =>      This Inner Loop Header: Depth=4
	s_and_saveexec_b64 s[46:47], s[0:1]
	s_cbranch_execz .LBB12_13
; %bb.15:                               ;   in Loop: Header=BB12_14 Depth=4
	global_load_dword v22, v[13:14], off
	global_load_dword v24, v[15:16], off
	s_waitcnt vmcnt(1)
	v_cvt_f64_f32_e32 v[22:23], v22
	s_waitcnt vmcnt(0)
	v_cvt_f64_f32_e32 v[24:25], v24
	v_fma_f64 v[5:6], v[22:23], v[24:25], v[5:6]
	s_branch .LBB12_13
.LBB12_16:                              ;   in Loop: Header=BB12_3 Depth=1
	v_mad_i64_i32 v[7:8], s[0:1], v19, s10, 0
	v_mov_b32_e32 v9, s53
	v_lshlrev_b64 v[3:4], 2, v[3:4]
	v_lshlrev_b64 v[7:8], 2, v[7:8]
	;; [unrolled: 1-line block ×3, first 2 shown]
	v_add_co_u32_e32 v7, vcc, s52, v7
	v_addc_co_u32_e32 v8, vcc, v9, v8, vcc
	v_add_co_u32_e32 v3, vcc, v7, v3
	v_addc_co_u32_e32 v4, vcc, v8, v4, vcc
	v_add_co_u32_e64 v1, s[0:1], v3, v1
	s_andn2_b64 vcc, exec, s[34:35]
	v_addc_co_u32_e64 v2, s[0:1], v4, v2, s[0:1]
	s_cbranch_vccnz .LBB12_2
; %bb.17:                               ;   in Loop: Header=BB12_3 Depth=1
	global_load_dword v3, v[1:2], off
	s_waitcnt vmcnt(0)
	v_cvt_f64_f32_e32 v[3:4], v3
	v_mul_f64 v[3:4], s[30:31], v[3:4]
	v_fma_f64 v[5:6], s[28:29], v[5:6], v[3:4]
	s_branch .LBB12_2
.LBB12_18:
	s_endpgm
	.section	.rodata,"a",@progbits
	.p2align	6, 0x0
	.amdhsa_kernel naive_conv_ab_packed_fwd_nhwc_float_double_float
		.amdhsa_group_segment_fixed_size 0
		.amdhsa_private_segment_fixed_size 0
		.amdhsa_kernarg_size 480
		.amdhsa_user_sgpr_count 6
		.amdhsa_user_sgpr_private_segment_buffer 1
		.amdhsa_user_sgpr_dispatch_ptr 0
		.amdhsa_user_sgpr_queue_ptr 0
		.amdhsa_user_sgpr_kernarg_segment_ptr 1
		.amdhsa_user_sgpr_dispatch_id 0
		.amdhsa_user_sgpr_flat_scratch_init 0
		.amdhsa_user_sgpr_private_segment_size 0
		.amdhsa_uses_dynamic_stack 0
		.amdhsa_system_sgpr_private_segment_wavefront_offset 0
		.amdhsa_system_sgpr_workgroup_id_x 1
		.amdhsa_system_sgpr_workgroup_id_y 0
		.amdhsa_system_sgpr_workgroup_id_z 0
		.amdhsa_system_sgpr_workgroup_info 0
		.amdhsa_system_vgpr_workitem_id 0
		.amdhsa_next_free_vgpr 26
		.amdhsa_next_free_sgpr 63
		.amdhsa_reserve_vcc 1
		.amdhsa_reserve_flat_scratch 0
		.amdhsa_float_round_mode_32 0
		.amdhsa_float_round_mode_16_64 0
		.amdhsa_float_denorm_mode_32 3
		.amdhsa_float_denorm_mode_16_64 3
		.amdhsa_dx10_clamp 1
		.amdhsa_ieee_mode 1
		.amdhsa_fp16_overflow 0
		.amdhsa_exception_fp_ieee_invalid_op 0
		.amdhsa_exception_fp_denorm_src 0
		.amdhsa_exception_fp_ieee_div_zero 0
		.amdhsa_exception_fp_ieee_overflow 0
		.amdhsa_exception_fp_ieee_underflow 0
		.amdhsa_exception_fp_ieee_inexact 0
		.amdhsa_exception_int_div_zero 0
	.end_amdhsa_kernel
	.text
.Lfunc_end12:
	.size	naive_conv_ab_packed_fwd_nhwc_float_double_float, .Lfunc_end12-naive_conv_ab_packed_fwd_nhwc_float_double_float
                                        ; -- End function
	.set naive_conv_ab_packed_fwd_nhwc_float_double_float.num_vgpr, 26
	.set naive_conv_ab_packed_fwd_nhwc_float_double_float.num_agpr, 0
	.set naive_conv_ab_packed_fwd_nhwc_float_double_float.numbered_sgpr, 63
	.set naive_conv_ab_packed_fwd_nhwc_float_double_float.num_named_barrier, 0
	.set naive_conv_ab_packed_fwd_nhwc_float_double_float.private_seg_size, 0
	.set naive_conv_ab_packed_fwd_nhwc_float_double_float.uses_vcc, 1
	.set naive_conv_ab_packed_fwd_nhwc_float_double_float.uses_flat_scratch, 0
	.set naive_conv_ab_packed_fwd_nhwc_float_double_float.has_dyn_sized_stack, 0
	.set naive_conv_ab_packed_fwd_nhwc_float_double_float.has_recursion, 0
	.set naive_conv_ab_packed_fwd_nhwc_float_double_float.has_indirect_call, 0
	.section	.AMDGPU.csdata,"",@progbits
; Kernel info:
; codeLenInByte = 1460
; TotalNumSgprs: 67
; NumVgprs: 26
; ScratchSize: 0
; MemoryBound: 0
; FloatMode: 240
; IeeeMode: 1
; LDSByteSize: 0 bytes/workgroup (compile time only)
; SGPRBlocks: 8
; VGPRBlocks: 6
; NumSGPRsForWavesPerEU: 67
; NumVGPRsForWavesPerEU: 26
; Occupancy: 9
; WaveLimiterHint : 0
; COMPUTE_PGM_RSRC2:SCRATCH_EN: 0
; COMPUTE_PGM_RSRC2:USER_SGPR: 6
; COMPUTE_PGM_RSRC2:TRAP_HANDLER: 0
; COMPUTE_PGM_RSRC2:TGID_X_EN: 1
; COMPUTE_PGM_RSRC2:TGID_Y_EN: 0
; COMPUTE_PGM_RSRC2:TGID_Z_EN: 0
; COMPUTE_PGM_RSRC2:TIDIG_COMP_CNT: 0
	.text
	.protected	naive_conv_ab_nonpacked_fwd_nhwc_float_double_float ; -- Begin function naive_conv_ab_nonpacked_fwd_nhwc_float_double_float
	.globl	naive_conv_ab_nonpacked_fwd_nhwc_float_double_float
	.p2align	8
	.type	naive_conv_ab_nonpacked_fwd_nhwc_float_double_float,@function
naive_conv_ab_nonpacked_fwd_nhwc_float_double_float: ; @naive_conv_ab_nonpacked_fwd_nhwc_float_double_float
; %bb.0:
	s_load_dwordx16 s[8:23], s[4:5], 0xa0
	s_abs_i32 s1, s6
	s_waitcnt lgkmcnt(0)
	s_abs_i32 s0, s13
	v_cvt_f32_u32_e32 v1, s0
	s_sub_i32 s2, 0, s0
	v_rcp_iflag_f32_e32 v1, v1
	v_mul_f32_e32 v1, 0x4f7ffffe, v1
	v_cvt_u32_f32_e32 v1, v1
	v_readfirstlane_b32 s3, v1
	s_mul_i32 s2, s2, s3
	s_mul_hi_u32 s2, s3, s2
	s_add_i32 s3, s3, s2
	s_mul_hi_u32 s2, s1, s3
	s_mul_i32 s3, s2, s0
	s_sub_i32 s1, s1, s3
	s_add_i32 s7, s2, 1
	s_sub_i32 s3, s1, s0
	s_cmp_ge_u32 s1, s0
	s_cselect_b32 s2, s7, s2
	s_cselect_b32 s1, s3, s1
	s_add_i32 s3, s2, 1
	s_cmp_ge_u32 s1, s0
	s_cselect_b32 s1, s3, s2
	s_abs_i32 s0, s10
	v_cvt_f32_u32_e32 v1, s0
	s_mul_i32 s10, s23, s11
	s_mul_i32 s23, s10, s14
	v_cmp_gt_i32_e32 vcc, s23, v0
	v_rcp_iflag_f32_e32 v1, v1
	v_mul_f32_e32 v1, 0x4f7ffffe, v1
	v_cvt_u32_f32_e32 v1, v1
	v_readfirstlane_b32 s2, v1
	s_and_saveexec_b64 s[24:25], vcc
	s_cbranch_execz .LBB13_18
; %bb.1:
	s_xor_b32 s3, s6, s13
	s_ashr_i32 s3, s3, 31
	s_xor_b32 s1, s1, s3
	s_sub_i32 s1, s1, s3
	s_sub_i32 s3, 0, s0
	s_mul_i32 s3, s3, s2
	s_mul_hi_u32 s3, s2, s3
	s_abs_i32 s14, s1
	s_add_i32 s2, s2, s3
	s_mul_hi_u32 s33, s14, s2
	s_ashr_i32 s7, s1, 31
	s_mul_i32 s1, s1, s13
	s_mul_i32 s33, s33, s0
	s_sub_i32 s6, s6, s1
	s_sub_i32 s1, s14, s33
	;; [unrolled: 1-line block ×3, first 2 shown]
	s_cmp_ge_u32 s1, s0
	s_cselect_b32 s1, s13, s1
	s_sub_i32 s13, s1, s0
	s_cmp_ge_u32 s1, s0
	s_load_dwordx8 s[24:31], s[4:5], 0x0
	s_load_dwordx2 s[34:35], s[4:5], 0x20
	s_load_dwordx2 s[2:3], s[4:5], 0x98
	s_load_dwordx4 s[60:63], s[4:5], 0x88
	s_cselect_b32 s0, s13, s1
	s_xor_b32 s0, s0, s7
	s_sub_i32 s52, s0, s7
	s_ashr_i32 s53, s52, 31
	s_waitcnt lgkmcnt(0)
	s_mul_i32 s0, s2, s53
	s_mul_hi_u32 s1, s2, s52
	s_add_i32 s0, s1, s0
	s_mul_i32 s1, s3, s52
	s_add_i32 s1, s0, s1
	s_mul_i32 s0, s2, s52
	s_ashr_i32 s2, s6, 31
	s_mul_i32 s2, s62, s2
	s_mul_hi_u32 s3, s62, s6
	s_add_i32 s2, s3, s2
	s_mul_i32 s3, s63, s6
	s_add_i32 s3, s2, s3
	s_lshl_b64 s[0:1], s[0:1], 2
	s_mul_i32 s2, s62, s6
	s_add_u32 s7, s34, s0
	s_addc_u32 s14, s35, s1
	s_lshl_b64 s[0:1], s[2:3], 2
	s_add_u32 s13, s7, s0
	s_addc_u32 s33, s14, s1
	s_cmp_lt_i32 s21, 1
	s_mul_i32 s6, s6, s15
	s_cselect_b64 s[2:3], -1, 0
	s_sub_i32 s19, s6, s19
	s_cmp_gt_i32 s22, 0
	s_cselect_b64 s[6:7], -1, 0
	s_cmp_gt_i32 s12, 0
	s_cselect_b64 s[14:15], -1, 0
	s_abs_i32 s66, s10
	s_abs_i32 s68, s11
	v_cvt_f32_u32_e32 v1, s66
	v_cvt_f32_u32_e32 v2, s68
	v_cmp_neq_f64_e64 s[0:1], s[28:29], 1.0
	v_cmp_neq_f64_e64 s[34:35], s[30:31], 0
	s_load_dwordx16 s[36:51], s[4:5], 0x28
	v_rcp_iflag_f32_e32 v1, v1
	v_rcp_iflag_f32_e32 v2, v2
	s_sub_i32 s62, 0, s66
	s_sub_i32 s63, 0, s68
	v_mul_f32_e32 v1, 0x4f7ffffe, v1
	v_mul_f32_e32 v2, 0x4f7ffffe, v2
	s_or_b64 s[34:35], s[0:1], s[34:35]
	s_waitcnt lgkmcnt(0)
	s_mul_i32 s0, s44, s53
	s_load_dword s53, s[4:5], 0xec
	v_cvt_u32_f32_e32 v1, v1
	v_cvt_u32_f32_e32 v2, v2
	s_mul_hi_u32 s1, s44, s52
	s_add_i32 s0, s1, s0
	s_mul_i32 s1, s45, s52
	v_mul_lo_u32 v3, s62, v1
	v_mul_lo_u32 v4, s63, v2
	s_add_i32 s1, s0, s1
	s_mul_i32 s0, s44, s52
	s_waitcnt lgkmcnt(0)
	s_and_b32 s64, s53, 0xffff
	s_load_dwordx8 s[52:59], s[4:5], 0x68
	v_mul_hi_u32 v3, v1, v3
	v_mul_hi_u32 v4, v2, v4
	s_lshl_b64 s[0:1], s[0:1], 2
	s_ashr_i32 s65, s10, 31
	s_ashr_i32 s67, s11, 31
	s_waitcnt lgkmcnt(0)
	s_lshl_b64 s[4:5], s[52:53], 2
	s_lshl_b64 s[44:45], s[54:55], 2
	;; [unrolled: 1-line block ×5, first 2 shown]
	s_add_u32 s24, s24, s0
	s_addc_u32 s25, s25, s1
	s_lshl_b64 s[38:39], s[38:39], 2
	s_lshl_b64 s[42:43], s[42:43], 2
	;; [unrolled: 1-line block ×4, first 2 shown]
	v_add_u32_e32 v15, v1, v3
	v_add_u32_e32 v16, v2, v4
	s_mov_b64 s[52:53], 0
	s_branch .LBB13_3
.LBB13_2:                               ;   in Loop: Header=BB13_3 Depth=1
	v_cvt_f32_f64_e32 v1, v[1:2]
	v_add_u32_e32 v0, s64, v0
	v_cmp_le_i32_e32 vcc, s23, v0
	s_or_b64 s[52:53], vcc, s[52:53]
	global_store_dword v[3:4], v1, off
	s_andn2_b64 exec, exec, s[52:53]
	s_cbranch_execz .LBB13_18
.LBB13_3:                               ; =>This Loop Header: Depth=1
                                        ;     Child Loop BB13_8 Depth 2
                                        ;       Child Loop BB13_11 Depth 3
                                        ;         Child Loop BB13_14 Depth 4
	v_sub_u32_e32 v1, 0, v0
	v_max_i32_e32 v1, v0, v1
	v_mul_hi_u32 v2, v1, v15
	v_ashrrev_i32_e32 v4, 31, v0
	v_xor_b32_e32 v4, s65, v4
	s_mov_b64 s[0:1], -1
	v_mul_lo_u32 v3, v2, s66
	v_add_u32_e32 v5, 1, v2
	v_sub_u32_e32 v1, v1, v3
	v_cmp_le_u32_e32 vcc, s66, v1
	v_subrev_u32_e32 v3, s66, v1
	v_cndmask_b32_e32 v2, v2, v5, vcc
	v_cndmask_b32_e32 v1, v1, v3, vcc
	v_add_u32_e32 v3, 1, v2
	v_cmp_le_u32_e32 vcc, s66, v1
	v_cndmask_b32_e32 v1, v2, v3, vcc
	v_xor_b32_e32 v1, v1, v4
	v_sub_u32_e32 v17, v1, v4
	v_mul_lo_u32 v1, v17, s10
	v_sub_u32_e32 v3, v0, v1
	v_sub_u32_e32 v1, 0, v3
	v_max_i32_e32 v1, v3, v1
	v_mul_hi_u32 v2, v1, v16
	v_ashrrev_i32_e32 v4, 31, v3
	v_xor_b32_e32 v6, s67, v4
	v_mul_lo_u32 v5, v2, s68
	v_add_u32_e32 v7, 1, v2
	v_sub_u32_e32 v1, v1, v5
	v_cmp_le_u32_e32 vcc, s68, v1
	v_subrev_u32_e32 v5, s68, v1
	v_cndmask_b32_e32 v2, v2, v7, vcc
	v_cndmask_b32_e32 v1, v1, v5, vcc
	v_add_u32_e32 v5, 1, v2
	v_cmp_le_u32_e32 vcc, s68, v1
	v_cndmask_b32_e32 v1, v2, v5, vcc
	v_xor_b32_e32 v1, v1, v6
	v_sub_u32_e32 v19, v1, v6
	v_mul_lo_u32 v5, v19, s11
	s_andn2_b64 vcc, exec, s[2:3]
	v_ashrrev_i32_e32 v21, 31, v19
	v_sub_u32_e32 v18, v3, v5
	v_ashrrev_i32_e32 v20, 31, v18
	s_cbranch_vccnz .LBB13_5
; %bb.4:                                ;   in Loop: Header=BB13_3 Depth=1
	s_mov_b64 s[0:1], 0
.LBB13_5:                               ;   in Loop: Header=BB13_3 Depth=1
	v_mov_b32_e32 v1, 0
	v_mov_b32_e32 v2, 0
	s_andn2_b64 vcc, exec, s[0:1]
	s_cbranch_vccnz .LBB13_16
; %bb.6:                                ;   in Loop: Header=BB13_3 Depth=1
	v_mul_lo_u32 v8, s45, v19
	v_mul_lo_u32 v9, s44, v21
	v_mad_u64_u32 v[1:2], s[0:1], s44, v19, 0
	v_ashrrev_i32_e32 v7, 31, v5
	v_sub_co_u32_e32 v3, vcc, v3, v5
	v_subb_co_u32_e32 v4, vcc, v4, v7, vcc
	v_add3_u32 v2, v2, v9, v8
	v_mul_lo_u32 v6, v17, s16
	v_mad_u64_u32 v[1:2], s[0:1], s4, v3, v[1:2]
	v_mul_lo_u32 v4, s4, v4
	v_mul_lo_u32 v3, s5, v3
	v_subrev_u32_e32 v22, s20, v6
	v_mul_lo_u32 v8, s38, v21
	v_mov_b32_e32 v7, s27
	v_add3_u32 v6, v3, v2, v4
	v_mov_b32_e32 v2, s24
	v_mov_b32_e32 v3, s25
	v_mad_u64_u32 v[3:4], s[0:1], s38, v19, v[2:3]
	v_mul_lo_u32 v2, s39, v19
	v_add_co_u32_e32 v5, vcc, s26, v1
	v_addc_co_u32_e32 v6, vcc, v7, v6, vcc
	v_add3_u32 v4, v2, v4, v8
	v_mov_b32_e32 v1, 0
	s_mov_b32 s69, 0
	v_mov_b32_e32 v2, 0
	s_mov_b32 s70, s19
	s_branch .LBB13_8
.LBB13_7:                               ;   in Loop: Header=BB13_8 Depth=2
	s_add_i32 s69, s69, 1
	v_mov_b32_e32 v7, s51
	s_add_i32 s70, s70, s17
	v_add_co_u32_e32 v5, vcc, s50, v5
	s_cmp_eq_u32 s69, s21
	v_addc_co_u32_e32 v6, vcc, v6, v7, vcc
	s_cbranch_scc1 .LBB13_16
.LBB13_8:                               ;   Parent Loop BB13_3 Depth=1
                                        ; =>  This Loop Header: Depth=2
                                        ;       Child Loop BB13_11 Depth 3
                                        ;         Child Loop BB13_14 Depth 4
	s_andn2_b64 vcc, exec, s[6:7]
	s_cbranch_vccnz .LBB13_7
; %bb.9:                                ;   in Loop: Header=BB13_8 Depth=2
	s_mul_i32 s0, s69, s17
	s_add_i32 s54, s0, s19
	s_cmp_lt_i32 s54, 0
	v_mov_b32_e32 v7, s70
	s_cselect_b64 s[0:1], -1, 0
	s_cmp_ge_i32 s54, s8
	v_mad_u64_u32 v[7:8], s[54:55], s42, v7, v[3:4]
	s_cselect_b64 s[54:55], -1, 0
	s_or_b64 s[54:55], s[0:1], s[54:55]
	s_mul_i32 s0, s43, s70
	v_mov_b32_e32 v10, v6
	s_mov_b32 s71, 0
	v_add_u32_e32 v8, s0, v8
	v_mov_b32_e32 v23, v22
	v_mov_b32_e32 v9, v5
	s_branch .LBB13_11
.LBB13_10:                              ;   in Loop: Header=BB13_11 Depth=3
	s_add_i32 s71, s71, 1
	v_mov_b32_e32 v11, s49
	v_add_co_u32_e32 v9, vcc, s48, v9
	v_addc_co_u32_e32 v10, vcc, v10, v11, vcc
	s_cmp_eq_u32 s71, s22
	v_add_u32_e32 v23, s18, v23
	s_cbranch_scc1 .LBB13_7
.LBB13_11:                              ;   Parent Loop BB13_3 Depth=1
                                        ;     Parent Loop BB13_8 Depth=2
                                        ; =>    This Loop Header: Depth=3
                                        ;         Child Loop BB13_14 Depth 4
	s_andn2_b64 vcc, exec, s[14:15]
	s_cbranch_vccnz .LBB13_10
; %bb.12:                               ;   in Loop: Header=BB13_11 Depth=3
	v_mad_u64_u32 v[11:12], s[0:1], s40, v23, v[7:8]
	s_mul_i32 s62, s71, s18
	s_mov_b32 s72, s12
	v_mad_u64_u32 v[12:13], s[0:1], s41, v23, v[12:13]
	v_add_u32_e32 v13, s62, v22
	v_cmp_gt_i32_e32 vcc, 0, v13
	v_cmp_le_i32_e64 s[0:1], s9, v13
	s_or_b64 s[0:1], vcc, s[0:1]
	v_mov_b32_e32 v14, v10
	s_nor_b64 s[0:1], s[54:55], s[0:1]
	v_mov_b32_e32 v13, v9
	s_branch .LBB13_14
.LBB13_13:                              ;   in Loop: Header=BB13_14 Depth=4
	s_or_b64 exec, exec, s[62:63]
	v_mov_b32_e32 v24, s47
	v_add_co_u32_e32 v13, vcc, s46, v13
	v_addc_co_u32_e32 v14, vcc, v14, v24, vcc
	s_add_i32 s72, s72, -1
	v_mov_b32_e32 v24, s37
	v_add_co_u32_e32 v11, vcc, s36, v11
	s_cmp_eq_u32 s72, 0
	v_addc_co_u32_e32 v12, vcc, v12, v24, vcc
	s_cbranch_scc1 .LBB13_10
.LBB13_14:                              ;   Parent Loop BB13_3 Depth=1
                                        ;     Parent Loop BB13_8 Depth=2
                                        ;       Parent Loop BB13_11 Depth=3
                                        ; =>      This Inner Loop Header: Depth=4
	s_and_saveexec_b64 s[62:63], s[0:1]
	s_cbranch_execz .LBB13_13
; %bb.15:                               ;   in Loop: Header=BB13_14 Depth=4
	global_load_dword v24, v[11:12], off
	global_load_dword v26, v[13:14], off
	s_waitcnt vmcnt(1)
	v_cvt_f64_f32_e32 v[24:25], v24
	s_waitcnt vmcnt(0)
	v_cvt_f64_f32_e32 v[26:27], v26
	v_fma_f64 v[1:2], v[24:25], v[26:27], v[1:2]
	s_branch .LBB13_13
.LBB13_16:                              ;   in Loop: Header=BB13_3 Depth=1
	v_ashrrev_i32_e32 v3, 31, v17
	v_mul_lo_u32 v9, s61, v17
	v_mul_lo_u32 v10, s60, v3
	v_mad_u64_u32 v[3:4], s[0:1], s60, v17, 0
	v_mul_lo_u32 v11, v21, s58
	v_mul_lo_u32 v12, v19, s59
	v_mad_u64_u32 v[5:6], s[0:1], v19, s58, 0
	v_add3_u32 v4, v4, v10, v9
	v_lshlrev_b64 v[3:4], 2, v[3:4]
	v_mul_lo_u32 v13, v20, s56
	v_mul_lo_u32 v14, v18, s57
	v_mad_u64_u32 v[7:8], s[0:1], v18, s56, 0
	v_add3_u32 v6, v6, v12, v11
	v_mov_b32_e32 v9, s33
	v_add_co_u32_e32 v10, vcc, s13, v3
	v_addc_co_u32_e32 v9, vcc, v9, v4, vcc
	v_lshlrev_b64 v[3:4], 2, v[5:6]
	v_add3_u32 v8, v8, v14, v13
	v_add_co_u32_e32 v5, vcc, v10, v3
	v_addc_co_u32_e32 v6, vcc, v9, v4, vcc
	v_lshlrev_b64 v[3:4], 2, v[7:8]
	s_andn2_b64 vcc, exec, s[34:35]
	v_add_co_u32_e64 v3, s[0:1], v5, v3
	v_addc_co_u32_e64 v4, s[0:1], v6, v4, s[0:1]
	s_cbranch_vccnz .LBB13_2
; %bb.17:                               ;   in Loop: Header=BB13_3 Depth=1
	global_load_dword v5, v[3:4], off
	s_waitcnt vmcnt(0)
	v_cvt_f64_f32_e32 v[5:6], v5
	v_mul_f64 v[5:6], s[30:31], v[5:6]
	v_fma_f64 v[1:2], s[28:29], v[1:2], v[5:6]
	s_branch .LBB13_2
.LBB13_18:
	s_endpgm
	.section	.rodata,"a",@progbits
	.p2align	6, 0x0
	.amdhsa_kernel naive_conv_ab_nonpacked_fwd_nhwc_float_double_float
		.amdhsa_group_segment_fixed_size 0
		.amdhsa_private_segment_fixed_size 0
		.amdhsa_kernarg_size 480
		.amdhsa_user_sgpr_count 6
		.amdhsa_user_sgpr_private_segment_buffer 1
		.amdhsa_user_sgpr_dispatch_ptr 0
		.amdhsa_user_sgpr_queue_ptr 0
		.amdhsa_user_sgpr_kernarg_segment_ptr 1
		.amdhsa_user_sgpr_dispatch_id 0
		.amdhsa_user_sgpr_flat_scratch_init 0
		.amdhsa_user_sgpr_private_segment_size 0
		.amdhsa_uses_dynamic_stack 0
		.amdhsa_system_sgpr_private_segment_wavefront_offset 0
		.amdhsa_system_sgpr_workgroup_id_x 1
		.amdhsa_system_sgpr_workgroup_id_y 0
		.amdhsa_system_sgpr_workgroup_id_z 0
		.amdhsa_system_sgpr_workgroup_info 0
		.amdhsa_system_vgpr_workitem_id 0
		.amdhsa_next_free_vgpr 28
		.amdhsa_next_free_sgpr 73
		.amdhsa_reserve_vcc 1
		.amdhsa_reserve_flat_scratch 0
		.amdhsa_float_round_mode_32 0
		.amdhsa_float_round_mode_16_64 0
		.amdhsa_float_denorm_mode_32 3
		.amdhsa_float_denorm_mode_16_64 3
		.amdhsa_dx10_clamp 1
		.amdhsa_ieee_mode 1
		.amdhsa_fp16_overflow 0
		.amdhsa_exception_fp_ieee_invalid_op 0
		.amdhsa_exception_fp_denorm_src 0
		.amdhsa_exception_fp_ieee_div_zero 0
		.amdhsa_exception_fp_ieee_overflow 0
		.amdhsa_exception_fp_ieee_underflow 0
		.amdhsa_exception_fp_ieee_inexact 0
		.amdhsa_exception_int_div_zero 0
	.end_amdhsa_kernel
	.text
.Lfunc_end13:
	.size	naive_conv_ab_nonpacked_fwd_nhwc_float_double_float, .Lfunc_end13-naive_conv_ab_nonpacked_fwd_nhwc_float_double_float
                                        ; -- End function
	.set naive_conv_ab_nonpacked_fwd_nhwc_float_double_float.num_vgpr, 28
	.set naive_conv_ab_nonpacked_fwd_nhwc_float_double_float.num_agpr, 0
	.set naive_conv_ab_nonpacked_fwd_nhwc_float_double_float.numbered_sgpr, 73
	.set naive_conv_ab_nonpacked_fwd_nhwc_float_double_float.num_named_barrier, 0
	.set naive_conv_ab_nonpacked_fwd_nhwc_float_double_float.private_seg_size, 0
	.set naive_conv_ab_nonpacked_fwd_nhwc_float_double_float.uses_vcc, 1
	.set naive_conv_ab_nonpacked_fwd_nhwc_float_double_float.uses_flat_scratch, 0
	.set naive_conv_ab_nonpacked_fwd_nhwc_float_double_float.has_dyn_sized_stack, 0
	.set naive_conv_ab_nonpacked_fwd_nhwc_float_double_float.has_recursion, 0
	.set naive_conv_ab_nonpacked_fwd_nhwc_float_double_float.has_indirect_call, 0
	.section	.AMDGPU.csdata,"",@progbits
; Kernel info:
; codeLenInByte = 1548
; TotalNumSgprs: 77
; NumVgprs: 28
; ScratchSize: 0
; MemoryBound: 0
; FloatMode: 240
; IeeeMode: 1
; LDSByteSize: 0 bytes/workgroup (compile time only)
; SGPRBlocks: 9
; VGPRBlocks: 6
; NumSGPRsForWavesPerEU: 77
; NumVGPRsForWavesPerEU: 28
; Occupancy: 9
; WaveLimiterHint : 0
; COMPUTE_PGM_RSRC2:SCRATCH_EN: 0
; COMPUTE_PGM_RSRC2:USER_SGPR: 6
; COMPUTE_PGM_RSRC2:TRAP_HANDLER: 0
; COMPUTE_PGM_RSRC2:TGID_X_EN: 1
; COMPUTE_PGM_RSRC2:TGID_Y_EN: 0
; COMPUTE_PGM_RSRC2:TGID_Z_EN: 0
; COMPUTE_PGM_RSRC2:TIDIG_COMP_CNT: 0
	.text
	.protected	naive_conv_ab_packed_fwd_nhwc_half_double_half ; -- Begin function naive_conv_ab_packed_fwd_nhwc_half_double_half
	.globl	naive_conv_ab_packed_fwd_nhwc_half_double_half
	.p2align	8
	.type	naive_conv_ab_packed_fwd_nhwc_half_double_half,@function
naive_conv_ab_packed_fwd_nhwc_half_double_half: ; @naive_conv_ab_packed_fwd_nhwc_half_double_half
; %bb.0:
	s_load_dwordx16 s[8:23], s[4:5], 0xa0
	s_abs_i32 s1, s6
	s_waitcnt lgkmcnt(0)
	s_abs_i32 s0, s13
	v_cvt_f32_u32_e32 v1, s0
	s_sub_i32 s2, 0, s0
	v_rcp_iflag_f32_e32 v1, v1
	v_mul_f32_e32 v1, 0x4f7ffffe, v1
	v_cvt_u32_f32_e32 v1, v1
	v_readfirstlane_b32 s3, v1
	s_mul_i32 s2, s2, s3
	s_mul_hi_u32 s2, s3, s2
	s_add_i32 s3, s3, s2
	s_mul_hi_u32 s2, s1, s3
	s_mul_i32 s3, s2, s0
	s_sub_i32 s1, s1, s3
	s_add_i32 s7, s2, 1
	s_sub_i32 s3, s1, s0
	s_cmp_ge_u32 s1, s0
	s_cselect_b32 s2, s7, s2
	s_cselect_b32 s1, s3, s1
	s_add_i32 s3, s2, 1
	s_cmp_ge_u32 s1, s0
	s_cselect_b32 s1, s3, s2
	s_abs_i32 s0, s10
	v_cvt_f32_u32_e32 v1, s0
	s_mul_i32 s10, s23, s11
	s_mul_i32 s33, s10, s14
	v_cmp_gt_i32_e32 vcc, s33, v0
	v_rcp_iflag_f32_e32 v1, v1
	v_mul_f32_e32 v1, 0x4f7ffffe, v1
	v_cvt_u32_f32_e32 v1, v1
	v_readfirstlane_b32 s2, v1
	s_and_saveexec_b64 s[24:25], vcc
	s_cbranch_execz .LBB14_20
; %bb.1:
	s_xor_b32 s3, s6, s13
	s_ashr_i32 s3, s3, 31
	s_sub_i32 s36, 0, s0
	s_xor_b32 s1, s1, s3
	s_mul_i32 s36, s36, s2
	s_sub_i32 s1, s1, s3
	s_mul_hi_u32 s36, s2, s36
	s_abs_i32 s7, s1
	s_add_i32 s2, s2, s36
	s_mul_hi_u32 s2, s7, s2
	s_ashr_i32 s3, s1, 31
	s_mul_i32 s1, s1, s13
	s_mul_i32 s2, s2, s0
	s_sub_i32 s6, s6, s1
	s_sub_i32 s1, s7, s2
	;; [unrolled: 1-line block ×3, first 2 shown]
	s_cmp_ge_u32 s1, s0
	s_cselect_b32 s1, s2, s1
	s_sub_i32 s2, s1, s0
	s_cmp_ge_u32 s1, s0
	s_cselect_b32 s0, s2, s1
	s_xor_b32 s0, s0, s3
	s_mul_i32 s23, s23, s12
	s_sub_i32 s38, s0, s3
	s_ashr_i32 s39, s38, 31
	s_ashr_i32 s48, s9, 31
	;; [unrolled: 1-line block ×3, first 2 shown]
	s_mul_i32 s1, s38, s13
	s_ashr_i32 s51, s10, 31
	s_ashr_i32 s2, s6, 31
	s_mul_hi_i32 s0, s38, s13
	s_add_u32 s3, s1, s6
	s_load_dwordx8 s[24:31], s[4:5], 0x0
	s_load_dwordx2 s[34:35], s[4:5], 0x20
	s_addc_u32 s0, s0, s2
	s_mul_hi_i32 s1, s10, s14
	s_mul_i32 s0, s33, s0
	s_mul_hi_u32 s2, s33, s3
	s_add_i32 s0, s2, s0
	s_mul_i32 s1, s1, s3
	s_add_i32 s1, s0, s1
	s_mul_i32 s0, s33, s3
	s_lshl_b64 s[0:1], s[0:1], 1
	s_waitcnt lgkmcnt(0)
	s_add_u32 s52, s34, s0
	s_addc_u32 s53, s35, s1
	s_cmp_lt_i32 s21, 1
	s_mul_i32 s6, s6, s15
	s_cselect_b64 s[2:3], -1, 0
	s_sub_i32 s19, s6, s19
	s_cmp_gt_i32 s22, 0
	s_load_dword s36, s[4:5], 0xec
	s_cselect_b64 s[4:5], -1, 0
	s_cmp_gt_i32 s12, 0
	s_cselect_b64 s[6:7], -1, 0
	s_abs_i32 s55, s10
	v_cvt_f32_u32_e32 v1, s55
	s_abs_i32 s56, s11
	v_cvt_f32_u32_e32 v2, s56
	v_cmp_neq_f64_e64 s[0:1], s[28:29], 1.0
	v_rcp_iflag_f32_e32 v1, v1
	v_cmp_neq_f64_e64 s[34:35], s[30:31], 0
	v_rcp_iflag_f32_e32 v2, v2
	s_sub_i32 s14, 0, s55
	v_mul_f32_e32 v1, 0x4f7ffffe, v1
	v_cvt_u32_f32_e32 v1, v1
	v_mul_f32_e32 v2, 0x4f7ffffe, v2
	v_cvt_u32_f32_e32 v2, v2
	s_mov_b32 s49, s9
	s_ashr_i32 s13, s12, 31
	v_mul_lo_u32 v3, s14, v1
	s_sub_i32 s14, 0, s56
	s_or_b64 s[34:35], s[0:1], s[34:35]
	s_mul_hi_i32 s0, s9, s8
	s_mul_i32 s9, s9, s8
	v_mul_lo_u32 v4, s14, v2
	s_waitcnt lgkmcnt(0)
	s_and_b32 s58, s36, 0xffff
	s_lshl_b64 s[36:37], s[12:13], 1
	s_mul_i32 s1, s9, s39
	s_mul_hi_u32 s13, s9, s38
	s_add_i32 s1, s13, s1
	s_mul_i32 s0, s0, s38
	s_add_i32 s1, s1, s0
	s_mul_i32 s0, s9, s38
	s_ashr_i32 s40, s21, 31
	s_lshl_b64 s[38:39], s[0:1], 1
	s_mul_i32 s0, s22, s12
	v_mul_hi_u32 v3, v1, v3
	v_mul_hi_u32 v4, v2, v4
	s_mul_i32 s1, s0, s40
	s_mul_hi_u32 s9, s0, s21
	s_add_i32 s9, s9, s1
	s_mul_hi_i32 s1, s22, s12
	s_mul_i32 s13, s1, s21
	s_add_i32 s41, s9, s13
	s_mul_i32 s40, s0, s21
	s_ashr_i32 s54, s11, 31
	s_mov_b32 s57, s11
	s_mov_b64 s[14:15], 0
	v_add_u32_e32 v17, v1, v3
	v_add_u32_e32 v18, v2, v4
	s_lshl_b64 s[40:41], s[40:41], 1
	s_lshl_b64 s[42:43], s[0:1], 1
	s_movk_i32 s9, 0x1ff
	s_movk_i32 s13, 0xffe
	;; [unrolled: 1-line block ×3, first 2 shown]
	s_mov_b32 s60, 0x8000
	v_mov_b32_e32 v19, 0x7c00
	v_mov_b32_e32 v20, 0x7e00
	s_branch .LBB14_3
.LBB14_2:                               ;   in Loop: Header=BB14_3 Depth=1
	v_add_u32_e32 v0, s58, v0
	v_cmp_le_i32_e32 vcc, s33, v0
	s_or_b64 s[14:15], vcc, s[14:15]
	s_andn2_b64 exec, exec, s[14:15]
	s_cbranch_execz .LBB14_20
.LBB14_3:                               ; =>This Loop Header: Depth=1
                                        ;     Child Loop BB14_8 Depth 2
                                        ;       Child Loop BB14_11 Depth 3
                                        ;         Child Loop BB14_14 Depth 4
	v_sub_u32_e32 v1, 0, v0
	v_max_i32_e32 v1, v0, v1
	v_mul_hi_u32 v2, v1, v17
	v_ashrrev_i32_e32 v4, 31, v0
	v_xor_b32_e32 v4, s51, v4
	s_mov_b64 s[0:1], -1
	v_mul_lo_u32 v3, v2, s55
	v_add_u32_e32 v5, 1, v2
	v_sub_u32_e32 v1, v1, v3
	v_cmp_le_u32_e32 vcc, s55, v1
	v_subrev_u32_e32 v3, s55, v1
	v_cndmask_b32_e32 v2, v2, v5, vcc
	v_cndmask_b32_e32 v1, v1, v3, vcc
	v_add_u32_e32 v3, 1, v2
	v_cmp_le_u32_e32 vcc, s55, v1
	v_cndmask_b32_e32 v1, v2, v3, vcc
	v_xor_b32_e32 v1, v1, v4
	v_sub_u32_e32 v21, v1, v4
	v_mul_lo_u32 v1, v21, s10
	v_sub_u32_e32 v9, v0, v1
	v_sub_u32_e32 v1, 0, v9
	v_max_i32_e32 v1, v9, v1
	v_mul_hi_u32 v2, v1, v18
	v_ashrrev_i32_e32 v10, 31, v9
	v_xor_b32_e32 v4, s54, v10
	v_mul_lo_u32 v3, v2, s56
	v_add_u32_e32 v5, 1, v2
	v_sub_u32_e32 v1, v1, v3
	v_cmp_le_u32_e32 vcc, s56, v1
	v_subrev_u32_e32 v3, s56, v1
	v_cndmask_b32_e32 v2, v2, v5, vcc
	v_cndmask_b32_e32 v1, v1, v3, vcc
	v_add_u32_e32 v3, 1, v2
	v_cmp_le_u32_e32 vcc, s56, v1
	v_cndmask_b32_e32 v1, v2, v3, vcc
	v_xor_b32_e32 v1, v1, v4
	v_sub_u32_e32 v12, v1, v4
	v_mul_lo_u32 v11, v12, s11
	s_andn2_b64 vcc, exec, s[2:3]
                                        ; implicit-def: $vgpr5_vgpr6
	v_sub_u32_e32 v3, v9, v11
	v_ashrrev_i32_e32 v4, 31, v3
	s_cbranch_vccnz .LBB14_5
; %bb.4:                                ;   in Loop: Header=BB14_3 Depth=1
	v_mad_i64_i32 v[5:6], s[0:1], v12, s57, 0
	s_mov_b64 s[0:1], 0
.LBB14_5:                               ;   in Loop: Header=BB14_3 Depth=1
	v_mov_b32_e32 v1, 0
	v_mov_b32_e32 v2, 0
	s_andn2_b64 vcc, exec, s[0:1]
	s_cbranch_vccnz .LBB14_16
; %bb.6:                                ;   in Loop: Header=BB14_3 Depth=1
	v_mad_i64_i32 v[5:6], s[0:1], v12, s57, 0
	v_mov_b32_e32 v1, s24
	v_mov_b32_e32 v2, s25
	v_mad_u64_u32 v[7:8], s[0:1], s36, v12, v[1:2]
	v_add_co_u32_e32 v1, vcc, v5, v9
	v_addc_co_u32_e32 v2, vcc, v6, v10, vcc
	v_ashrrev_i32_e32 v9, 31, v11
	v_sub_co_u32_e32 v10, vcc, v1, v11
	v_subb_co_u32_e32 v1, vcc, v2, v9, vcc
	v_mul_lo_u32 v11, s40, v1
	v_mov_b32_e32 v1, s26
	v_ashrrev_i32_e32 v14, 31, v12
	v_mov_b32_e32 v2, s27
	v_mul_lo_u32 v13, v21, s16
	v_mul_lo_u32 v12, s37, v12
	;; [unrolled: 1-line block ×4, first 2 shown]
	v_mad_u64_u32 v[9:10], s[0:1], s40, v10, v[1:2]
	v_mov_b32_e32 v1, 0
	v_subrev_u32_e32 v22, s20, v13
	v_add3_u32 v8, v12, v8, v14
	v_add3_u32 v10, v15, v10, v11
	s_mov_b32 s61, 0
	v_mov_b32_e32 v2, 0
	s_mov_b32 s62, s19
	s_branch .LBB14_8
.LBB14_7:                               ;   in Loop: Header=BB14_8 Depth=2
	s_add_i32 s61, s61, 1
	s_add_i32 s62, s62, s17
	v_mov_b32_e32 v11, s43
	v_add_co_u32_e32 v9, vcc, s42, v9
	s_cmp_eq_u32 s61, s21
	v_addc_co_u32_e32 v10, vcc, v10, v11, vcc
	s_cbranch_scc1 .LBB14_16
.LBB14_8:                               ;   Parent Loop BB14_3 Depth=1
                                        ; =>  This Loop Header: Depth=2
                                        ;       Child Loop BB14_11 Depth 3
                                        ;         Child Loop BB14_14 Depth 4
	s_andn2_b64 vcc, exec, s[4:5]
	s_cbranch_vccnz .LBB14_7
; %bb.9:                                ;   in Loop: Header=BB14_8 Depth=2
	s_mul_i32 s0, s48, s62
	s_mul_hi_u32 s1, s49, s62
	s_add_i32 s63, s1, s0
	s_mul_i32 s0, s61, s17
	s_add_i32 s44, s0, s19
	s_cmp_lt_i32 s44, 0
	s_cselect_b64 s[0:1], -1, 0
	s_cmp_ge_i32 s44, s8
	s_cselect_b64 s[44:45], -1, 0
	v_mov_b32_e32 v12, v10
	s_mul_i32 s64, s49, s62
	s_mov_b32 s65, 0
	s_or_b64 s[44:45], s[0:1], s[44:45]
	v_mov_b32_e32 v11, v9
	v_mov_b32_e32 v23, v22
	s_branch .LBB14_11
.LBB14_10:                              ;   in Loop: Header=BB14_11 Depth=3
	s_add_i32 s65, s65, 1
	v_mov_b32_e32 v13, s37
	v_add_co_u32_e32 v11, vcc, s36, v11
	v_add_u32_e32 v23, s18, v23
	s_cmp_eq_u32 s65, s22
	v_addc_co_u32_e32 v12, vcc, v12, v13, vcc
	s_cbranch_scc1 .LBB14_7
.LBB14_11:                              ;   Parent Loop BB14_3 Depth=1
                                        ;     Parent Loop BB14_8 Depth=2
                                        ; =>    This Loop Header: Depth=3
                                        ;         Child Loop BB14_14 Depth 4
	s_andn2_b64 vcc, exec, s[6:7]
	s_cbranch_vccnz .LBB14_10
; %bb.12:                               ;   in Loop: Header=BB14_11 Depth=3
	v_mov_b32_e32 v14, s63
	v_add_co_u32_e32 v13, vcc, s64, v23
	v_addc_co_u32_e32 v14, vcc, 0, v14, vcc
	v_lshlrev_b64 v[13:14], 1, v[13:14]
	v_mov_b32_e32 v15, s39
	v_add_co_u32_e32 v13, vcc, s38, v13
	v_addc_co_u32_e32 v14, vcc, v15, v14, vcc
	v_mul_lo_u32 v15, s23, v14
	v_mul_lo_u32 v16, s50, v13
	v_mad_u64_u32 v[13:14], s[0:1], s23, v13, v[7:8]
	s_mul_i32 s0, s65, s18
	s_mov_b32 s66, s12
	v_add3_u32 v14, v16, v14, v15
	v_add_u32_e32 v15, s0, v22
	v_cmp_gt_i32_e32 vcc, 0, v15
	v_cmp_le_i32_e64 s[0:1], s49, v15
	s_or_b64 s[0:1], vcc, s[0:1]
	v_mov_b32_e32 v16, v12
	s_nor_b64 s[0:1], s[44:45], s[0:1]
	v_mov_b32_e32 v15, v11
	s_branch .LBB14_14
.LBB14_13:                              ;   in Loop: Header=BB14_14 Depth=4
	s_or_b64 exec, exec, s[46:47]
	v_add_co_u32_e32 v13, vcc, 2, v13
	v_addc_co_u32_e32 v14, vcc, 0, v14, vcc
	s_add_i32 s66, s66, -1
	v_add_co_u32_e32 v15, vcc, 2, v15
	s_cmp_eq_u32 s66, 0
	v_addc_co_u32_e32 v16, vcc, 0, v16, vcc
	s_cbranch_scc1 .LBB14_10
.LBB14_14:                              ;   Parent Loop BB14_3 Depth=1
                                        ;     Parent Loop BB14_8 Depth=2
                                        ;       Parent Loop BB14_11 Depth=3
                                        ; =>      This Inner Loop Header: Depth=4
	s_and_saveexec_b64 s[46:47], s[0:1]
	s_cbranch_execz .LBB14_13
; %bb.15:                               ;   in Loop: Header=BB14_14 Depth=4
	global_load_ushort v24, v[13:14], off
	global_load_ushort v25, v[15:16], off
	s_waitcnt vmcnt(1)
	v_cvt_f32_f16_e32 v24, v24
	s_waitcnt vmcnt(0)
	v_cvt_f32_f16_e32 v26, v25
	v_cvt_f64_f32_e32 v[24:25], v24
	v_cvt_f64_f32_e32 v[26:27], v26
	v_fma_f64 v[1:2], v[24:25], v[26:27], v[1:2]
	s_branch .LBB14_13
.LBB14_16:                              ;   in Loop: Header=BB14_3 Depth=1
	v_mad_i64_i32 v[3:4], s[0:1], v21, s10, v[3:4]
	s_mov_b64 s[0:1], -1
	v_add_co_u32_e32 v3, vcc, v3, v5
	v_addc_co_u32_e32 v4, vcc, v4, v6, vcc
	v_lshlrev_b64 v[3:4], 1, v[3:4]
	s_and_b64 vcc, exec, s[34:35]
	s_cbranch_vccz .LBB14_18
; %bb.17:                               ;   in Loop: Header=BB14_3 Depth=1
	v_mov_b32_e32 v6, s53
	v_add_co_u32_e32 v5, vcc, s52, v3
	v_addc_co_u32_e32 v6, vcc, v6, v4, vcc
	global_load_ushort v7, v[5:6], off
	s_mov_b64 s[0:1], 0
	s_waitcnt vmcnt(0)
	v_cvt_f32_f16_e32 v7, v7
	v_cvt_f64_f32_e32 v[7:8], v7
	v_mul_f64 v[7:8], s[30:31], v[7:8]
	v_fma_f64 v[7:8], s[28:29], v[1:2], v[7:8]
	v_and_or_b32 v7, v8, s9, v7
	v_cmp_ne_u32_e32 vcc, 0, v7
	v_lshrrev_b32_e32 v9, 8, v8
	v_bfe_u32 v10, v8, 20, 11
	v_cndmask_b32_e64 v7, 0, 1, vcc
	v_sub_u32_e32 v11, 0x3f1, v10
	v_and_or_b32 v7, v9, s13, v7
	v_med3_i32 v9, v11, 0, 13
	v_or_b32_e32 v11, 0x1000, v7
	v_lshrrev_b32_e32 v13, v9, v11
	v_add_u32_e32 v10, 0xfffffc10, v10
	v_cmp_ne_u32_e32 vcc, 0, v7
	v_lshlrev_b32_e32 v9, v9, v13
	v_lshl_or_b32 v12, v10, 12, v7
	v_cndmask_b32_e32 v7, v19, v20, vcc
	v_cmp_ne_u32_e32 vcc, v9, v11
	v_cndmask_b32_e64 v9, 0, 1, vcc
	v_or_b32_e32 v9, v13, v9
	v_cmp_gt_i32_e32 vcc, 1, v10
	v_cndmask_b32_e32 v9, v12, v9, vcc
	v_and_b32_e32 v11, 7, v9
	v_cmp_lt_i32_e32 vcc, 5, v11
	v_cndmask_b32_e64 v12, 0, 1, vcc
	v_cmp_eq_u32_e32 vcc, 3, v11
	v_cndmask_b32_e64 v11, 0, 1, vcc
	v_lshrrev_b32_e32 v9, 2, v9
	v_or_b32_e32 v11, v11, v12
	v_add_u32_e32 v9, v9, v11
	v_cmp_gt_i32_e32 vcc, 31, v10
	v_cndmask_b32_e32 v9, v19, v9, vcc
	v_cmp_eq_u32_e32 vcc, s59, v10
	v_lshrrev_b32_e32 v8, 16, v8
	v_cndmask_b32_e32 v7, v9, v7, vcc
	v_and_or_b32 v7, v8, s60, v7
	global_store_short v[5:6], v7, off
.LBB14_18:                              ;   in Loop: Header=BB14_3 Depth=1
	s_andn2_b64 vcc, exec, s[0:1]
	s_cbranch_vccnz .LBB14_2
; %bb.19:                               ;   in Loop: Header=BB14_3 Depth=1
	v_and_or_b32 v1, v2, s9, v1
	v_cmp_ne_u32_e32 vcc, 0, v1
	v_cndmask_b32_e64 v1, 0, 1, vcc
	v_lshrrev_b32_e32 v5, 8, v2
	v_bfe_u32 v6, v2, 20, 11
	v_and_or_b32 v1, v5, s13, v1
	v_sub_u32_e32 v7, 0x3f1, v6
	v_or_b32_e32 v5, 0x1000, v1
	v_med3_i32 v7, v7, 0, 13
	v_lshrrev_b32_e32 v8, v7, v5
	v_lshlrev_b32_e32 v7, v7, v8
	v_cmp_ne_u32_e32 vcc, v7, v5
	v_cndmask_b32_e64 v5, 0, 1, vcc
	v_add_u32_e32 v6, 0xfffffc10, v6
	v_or_b32_e32 v5, v8, v5
	v_lshl_or_b32 v7, v6, 12, v1
	v_cmp_gt_i32_e32 vcc, 1, v6
	v_cndmask_b32_e32 v5, v7, v5, vcc
	v_and_b32_e32 v7, 7, v5
	v_cmp_lt_i32_e32 vcc, 5, v7
	v_cndmask_b32_e64 v8, 0, 1, vcc
	v_cmp_eq_u32_e32 vcc, 3, v7
	v_cndmask_b32_e64 v7, 0, 1, vcc
	v_or_b32_e32 v7, v7, v8
	v_lshrrev_b32_e32 v5, 2, v5
	v_add_u32_e32 v5, v5, v7
	v_cmp_gt_i32_e32 vcc, 31, v6
	v_cndmask_b32_e32 v5, v19, v5, vcc
	v_cmp_ne_u32_e32 vcc, 0, v1
	v_cndmask_b32_e32 v1, v19, v20, vcc
	v_cmp_eq_u32_e32 vcc, s59, v6
	v_cndmask_b32_e32 v1, v5, v1, vcc
	v_lshrrev_b32_e32 v2, 16, v2
	v_and_or_b32 v5, v2, s60, v1
	v_mov_b32_e32 v2, s53
	v_add_co_u32_e32 v1, vcc, s52, v3
	v_addc_co_u32_e32 v2, vcc, v2, v4, vcc
	global_store_short v[1:2], v5, off
	s_branch .LBB14_2
.LBB14_20:
	s_endpgm
	.section	.rodata,"a",@progbits
	.p2align	6, 0x0
	.amdhsa_kernel naive_conv_ab_packed_fwd_nhwc_half_double_half
		.amdhsa_group_segment_fixed_size 0
		.amdhsa_private_segment_fixed_size 0
		.amdhsa_kernarg_size 480
		.amdhsa_user_sgpr_count 6
		.amdhsa_user_sgpr_private_segment_buffer 1
		.amdhsa_user_sgpr_dispatch_ptr 0
		.amdhsa_user_sgpr_queue_ptr 0
		.amdhsa_user_sgpr_kernarg_segment_ptr 1
		.amdhsa_user_sgpr_dispatch_id 0
		.amdhsa_user_sgpr_flat_scratch_init 0
		.amdhsa_user_sgpr_private_segment_size 0
		.amdhsa_uses_dynamic_stack 0
		.amdhsa_system_sgpr_private_segment_wavefront_offset 0
		.amdhsa_system_sgpr_workgroup_id_x 1
		.amdhsa_system_sgpr_workgroup_id_y 0
		.amdhsa_system_sgpr_workgroup_id_z 0
		.amdhsa_system_sgpr_workgroup_info 0
		.amdhsa_system_vgpr_workitem_id 0
		.amdhsa_next_free_vgpr 28
		.amdhsa_next_free_sgpr 67
		.amdhsa_reserve_vcc 1
		.amdhsa_reserve_flat_scratch 0
		.amdhsa_float_round_mode_32 0
		.amdhsa_float_round_mode_16_64 0
		.amdhsa_float_denorm_mode_32 3
		.amdhsa_float_denorm_mode_16_64 3
		.amdhsa_dx10_clamp 1
		.amdhsa_ieee_mode 1
		.amdhsa_fp16_overflow 0
		.amdhsa_exception_fp_ieee_invalid_op 0
		.amdhsa_exception_fp_denorm_src 0
		.amdhsa_exception_fp_ieee_div_zero 0
		.amdhsa_exception_fp_ieee_overflow 0
		.amdhsa_exception_fp_ieee_underflow 0
		.amdhsa_exception_fp_ieee_inexact 0
		.amdhsa_exception_int_div_zero 0
	.end_amdhsa_kernel
	.text
.Lfunc_end14:
	.size	naive_conv_ab_packed_fwd_nhwc_half_double_half, .Lfunc_end14-naive_conv_ab_packed_fwd_nhwc_half_double_half
                                        ; -- End function
	.set naive_conv_ab_packed_fwd_nhwc_half_double_half.num_vgpr, 28
	.set naive_conv_ab_packed_fwd_nhwc_half_double_half.num_agpr, 0
	.set naive_conv_ab_packed_fwd_nhwc_half_double_half.numbered_sgpr, 67
	.set naive_conv_ab_packed_fwd_nhwc_half_double_half.num_named_barrier, 0
	.set naive_conv_ab_packed_fwd_nhwc_half_double_half.private_seg_size, 0
	.set naive_conv_ab_packed_fwd_nhwc_half_double_half.uses_vcc, 1
	.set naive_conv_ab_packed_fwd_nhwc_half_double_half.uses_flat_scratch, 0
	.set naive_conv_ab_packed_fwd_nhwc_half_double_half.has_dyn_sized_stack, 0
	.set naive_conv_ab_packed_fwd_nhwc_half_double_half.has_recursion, 0
	.set naive_conv_ab_packed_fwd_nhwc_half_double_half.has_indirect_call, 0
	.section	.AMDGPU.csdata,"",@progbits
; Kernel info:
; codeLenInByte = 1884
; TotalNumSgprs: 71
; NumVgprs: 28
; ScratchSize: 0
; MemoryBound: 0
; FloatMode: 240
; IeeeMode: 1
; LDSByteSize: 0 bytes/workgroup (compile time only)
; SGPRBlocks: 8
; VGPRBlocks: 6
; NumSGPRsForWavesPerEU: 71
; NumVGPRsForWavesPerEU: 28
; Occupancy: 9
; WaveLimiterHint : 0
; COMPUTE_PGM_RSRC2:SCRATCH_EN: 0
; COMPUTE_PGM_RSRC2:USER_SGPR: 6
; COMPUTE_PGM_RSRC2:TRAP_HANDLER: 0
; COMPUTE_PGM_RSRC2:TGID_X_EN: 1
; COMPUTE_PGM_RSRC2:TGID_Y_EN: 0
; COMPUTE_PGM_RSRC2:TGID_Z_EN: 0
; COMPUTE_PGM_RSRC2:TIDIG_COMP_CNT: 0
	.text
	.protected	naive_conv_ab_nonpacked_fwd_nhwc_half_double_half ; -- Begin function naive_conv_ab_nonpacked_fwd_nhwc_half_double_half
	.globl	naive_conv_ab_nonpacked_fwd_nhwc_half_double_half
	.p2align	8
	.type	naive_conv_ab_nonpacked_fwd_nhwc_half_double_half,@function
naive_conv_ab_nonpacked_fwd_nhwc_half_double_half: ; @naive_conv_ab_nonpacked_fwd_nhwc_half_double_half
; %bb.0:
	s_load_dwordx16 s[8:23], s[4:5], 0xa0
	s_abs_i32 s1, s6
	s_waitcnt lgkmcnt(0)
	s_abs_i32 s0, s13
	v_cvt_f32_u32_e32 v1, s0
	s_sub_i32 s2, 0, s0
	v_rcp_iflag_f32_e32 v1, v1
	v_mul_f32_e32 v1, 0x4f7ffffe, v1
	v_cvt_u32_f32_e32 v1, v1
	v_readfirstlane_b32 s3, v1
	s_mul_i32 s2, s2, s3
	s_mul_hi_u32 s2, s3, s2
	s_add_i32 s3, s3, s2
	s_mul_hi_u32 s2, s1, s3
	s_mul_i32 s3, s2, s0
	s_sub_i32 s1, s1, s3
	s_add_i32 s7, s2, 1
	s_sub_i32 s3, s1, s0
	s_cmp_ge_u32 s1, s0
	s_cselect_b32 s2, s7, s2
	s_cselect_b32 s1, s3, s1
	s_add_i32 s3, s2, 1
	s_cmp_ge_u32 s1, s0
	s_cselect_b32 s1, s3, s2
	s_abs_i32 s0, s10
	v_cvt_f32_u32_e32 v1, s0
	s_mul_i32 s10, s23, s11
	s_mul_i32 s23, s10, s14
	v_cmp_gt_i32_e32 vcc, s23, v0
	v_rcp_iflag_f32_e32 v1, v1
	v_mul_f32_e32 v1, 0x4f7ffffe, v1
	v_cvt_u32_f32_e32 v1, v1
	v_readfirstlane_b32 s2, v1
	s_and_saveexec_b64 s[24:25], vcc
	s_cbranch_execz .LBB15_20
; %bb.1:
	s_xor_b32 s3, s6, s13
	s_ashr_i32 s3, s3, 31
	s_xor_b32 s1, s1, s3
	s_sub_i32 s1, s1, s3
	s_sub_i32 s3, 0, s0
	s_mul_i32 s3, s3, s2
	s_mul_hi_u32 s3, s2, s3
	s_abs_i32 s14, s1
	s_add_i32 s2, s2, s3
	s_mul_hi_u32 s33, s14, s2
	s_ashr_i32 s7, s1, 31
	s_mul_i32 s1, s1, s13
	s_mul_i32 s33, s33, s0
	s_sub_i32 s6, s6, s1
	s_sub_i32 s1, s14, s33
	;; [unrolled: 1-line block ×3, first 2 shown]
	s_cmp_ge_u32 s1, s0
	s_cselect_b32 s1, s13, s1
	s_sub_i32 s13, s1, s0
	s_cmp_ge_u32 s1, s0
	s_load_dwordx8 s[24:31], s[4:5], 0x0
	s_load_dwordx2 s[34:35], s[4:5], 0x20
	s_load_dwordx2 s[2:3], s[4:5], 0x98
	s_load_dwordx4 s[60:63], s[4:5], 0x88
	s_cselect_b32 s0, s13, s1
	s_xor_b32 s0, s0, s7
	s_sub_i32 s52, s0, s7
	s_ashr_i32 s53, s52, 31
	s_waitcnt lgkmcnt(0)
	s_mul_i32 s0, s2, s53
	s_mul_hi_u32 s1, s2, s52
	s_add_i32 s0, s1, s0
	s_mul_i32 s1, s3, s52
	s_add_i32 s1, s0, s1
	s_mul_i32 s0, s2, s52
	s_ashr_i32 s2, s6, 31
	s_mul_i32 s2, s62, s2
	s_mul_hi_u32 s3, s62, s6
	s_add_i32 s2, s3, s2
	s_mul_i32 s3, s63, s6
	s_add_i32 s3, s2, s3
	s_lshl_b64 s[0:1], s[0:1], 1
	s_mul_i32 s2, s62, s6
	s_add_u32 s7, s34, s0
	s_addc_u32 s14, s35, s1
	s_lshl_b64 s[0:1], s[2:3], 1
	s_add_u32 s13, s7, s0
	s_addc_u32 s33, s14, s1
	s_cmp_lt_i32 s21, 1
	s_mul_i32 s6, s6, s15
	s_cselect_b64 s[2:3], -1, 0
	s_sub_i32 s19, s6, s19
	s_cmp_gt_i32 s22, 0
	s_cselect_b64 s[6:7], -1, 0
	s_cmp_gt_i32 s12, 0
	s_cselect_b64 s[14:15], -1, 0
	s_abs_i32 s66, s10
	s_abs_i32 s68, s11
	v_cvt_f32_u32_e32 v1, s66
	v_cvt_f32_u32_e32 v2, s68
	v_cmp_neq_f64_e64 s[0:1], s[28:29], 1.0
	v_cmp_neq_f64_e64 s[34:35], s[30:31], 0
	s_load_dwordx16 s[36:51], s[4:5], 0x28
	v_rcp_iflag_f32_e32 v1, v1
	v_rcp_iflag_f32_e32 v2, v2
	s_sub_i32 s62, 0, s66
	s_sub_i32 s63, 0, s68
	v_mul_f32_e32 v1, 0x4f7ffffe, v1
	v_mul_f32_e32 v2, 0x4f7ffffe, v2
	s_or_b64 s[34:35], s[0:1], s[34:35]
	s_waitcnt lgkmcnt(0)
	s_mul_i32 s0, s44, s53
	s_load_dword s53, s[4:5], 0xec
	v_cvt_u32_f32_e32 v1, v1
	v_cvt_u32_f32_e32 v2, v2
	s_mul_hi_u32 s1, s44, s52
	s_add_i32 s0, s1, s0
	s_mul_i32 s1, s45, s52
	v_mul_lo_u32 v3, s62, v1
	v_mul_lo_u32 v4, s63, v2
	s_add_i32 s1, s0, s1
	s_mul_i32 s0, s44, s52
	s_waitcnt lgkmcnt(0)
	s_and_b32 s64, s53, 0xffff
	s_load_dwordx8 s[52:59], s[4:5], 0x68
	v_mul_hi_u32 v3, v1, v3
	v_mul_hi_u32 v4, v2, v4
	s_lshl_b64 s[0:1], s[0:1], 1
	s_ashr_i32 s65, s10, 31
	s_ashr_i32 s67, s11, 31
	s_waitcnt lgkmcnt(0)
	s_lshl_b64 s[4:5], s[52:53], 1
	s_lshl_b64 s[44:45], s[54:55], 1
	;; [unrolled: 1-line block ×5, first 2 shown]
	s_add_u32 s24, s24, s0
	s_addc_u32 s25, s25, s1
	s_lshl_b64 s[38:39], s[38:39], 1
	s_lshl_b64 s[42:43], s[42:43], 1
	;; [unrolled: 1-line block ×4, first 2 shown]
	v_add_u32_e32 v15, v1, v3
	v_add_u32_e32 v16, v2, v4
	v_mov_b32_e32 v17, 0x7c00
	v_mov_b32_e32 v18, 0x7e00
	s_movk_i32 s69, 0x1ff
	s_movk_i32 s70, 0xffe
	;; [unrolled: 1-line block ×3, first 2 shown]
	s_mov_b32 s72, 0x8000
	s_mov_b64 s[52:53], 0
	s_branch .LBB15_3
.LBB15_2:                               ;   in Loop: Header=BB15_3 Depth=1
	v_add_u32_e32 v0, s64, v0
	v_cmp_le_i32_e32 vcc, s23, v0
	s_or_b64 s[52:53], vcc, s[52:53]
	s_andn2_b64 exec, exec, s[52:53]
	s_cbranch_execz .LBB15_20
.LBB15_3:                               ; =>This Loop Header: Depth=1
                                        ;     Child Loop BB15_8 Depth 2
                                        ;       Child Loop BB15_11 Depth 3
                                        ;         Child Loop BB15_14 Depth 4
	v_sub_u32_e32 v1, 0, v0
	v_max_i32_e32 v1, v0, v1
	v_mul_hi_u32 v2, v1, v15
	v_ashrrev_i32_e32 v4, 31, v0
	v_xor_b32_e32 v4, s65, v4
	s_mov_b64 s[0:1], -1
	v_mul_lo_u32 v3, v2, s66
	v_add_u32_e32 v5, 1, v2
	v_sub_u32_e32 v1, v1, v3
	v_cmp_le_u32_e32 vcc, s66, v1
	v_subrev_u32_e32 v3, s66, v1
	v_cndmask_b32_e32 v2, v2, v5, vcc
	v_cndmask_b32_e32 v1, v1, v3, vcc
	v_add_u32_e32 v3, 1, v2
	v_cmp_le_u32_e32 vcc, s66, v1
	v_cndmask_b32_e32 v1, v2, v3, vcc
	v_xor_b32_e32 v1, v1, v4
	v_sub_u32_e32 v19, v1, v4
	v_mul_lo_u32 v1, v19, s10
	v_sub_u32_e32 v3, v0, v1
	v_sub_u32_e32 v1, 0, v3
	v_max_i32_e32 v1, v3, v1
	v_mul_hi_u32 v2, v1, v16
	v_ashrrev_i32_e32 v4, 31, v3
	v_xor_b32_e32 v6, s67, v4
	v_mul_lo_u32 v5, v2, s68
	v_add_u32_e32 v7, 1, v2
	v_sub_u32_e32 v1, v1, v5
	v_cmp_le_u32_e32 vcc, s68, v1
	v_subrev_u32_e32 v5, s68, v1
	v_cndmask_b32_e32 v2, v2, v7, vcc
	v_cndmask_b32_e32 v1, v1, v5, vcc
	v_add_u32_e32 v5, 1, v2
	v_cmp_le_u32_e32 vcc, s68, v1
	v_cndmask_b32_e32 v1, v2, v5, vcc
	v_xor_b32_e32 v1, v1, v6
	v_sub_u32_e32 v20, v1, v6
	v_mul_lo_u32 v5, v20, s11
	s_andn2_b64 vcc, exec, s[2:3]
	v_ashrrev_i32_e32 v21, 31, v20
	v_sub_u32_e32 v22, v3, v5
	v_ashrrev_i32_e32 v23, 31, v22
	s_cbranch_vccnz .LBB15_5
; %bb.4:                                ;   in Loop: Header=BB15_3 Depth=1
	s_mov_b64 s[0:1], 0
.LBB15_5:                               ;   in Loop: Header=BB15_3 Depth=1
	v_mov_b32_e32 v1, 0
	v_mov_b32_e32 v2, 0
	s_andn2_b64 vcc, exec, s[0:1]
	s_cbranch_vccnz .LBB15_16
; %bb.6:                                ;   in Loop: Header=BB15_3 Depth=1
	v_mul_lo_u32 v8, s45, v20
	v_mul_lo_u32 v9, s44, v21
	v_mad_u64_u32 v[1:2], s[0:1], s44, v20, 0
	v_ashrrev_i32_e32 v7, 31, v5
	v_sub_co_u32_e32 v3, vcc, v3, v5
	v_subb_co_u32_e32 v4, vcc, v4, v7, vcc
	v_add3_u32 v2, v2, v9, v8
	v_mul_lo_u32 v6, v19, s16
	v_mad_u64_u32 v[1:2], s[0:1], s4, v3, v[1:2]
	v_mul_lo_u32 v4, s4, v4
	v_mul_lo_u32 v3, s5, v3
	v_subrev_u32_e32 v24, s20, v6
	v_mul_lo_u32 v8, s38, v21
	v_mov_b32_e32 v7, s27
	v_add3_u32 v6, v3, v2, v4
	v_mov_b32_e32 v2, s24
	v_mov_b32_e32 v3, s25
	v_mad_u64_u32 v[3:4], s[0:1], s38, v20, v[2:3]
	v_mul_lo_u32 v2, s39, v20
	v_add_co_u32_e32 v5, vcc, s26, v1
	v_addc_co_u32_e32 v6, vcc, v7, v6, vcc
	v_add3_u32 v4, v2, v4, v8
	v_mov_b32_e32 v1, 0
	s_mov_b32 s73, 0
	v_mov_b32_e32 v2, 0
	s_mov_b32 s74, s19
	s_branch .LBB15_8
.LBB15_7:                               ;   in Loop: Header=BB15_8 Depth=2
	s_add_i32 s73, s73, 1
	v_mov_b32_e32 v7, s51
	s_add_i32 s74, s74, s17
	v_add_co_u32_e32 v5, vcc, s50, v5
	s_cmp_eq_u32 s73, s21
	v_addc_co_u32_e32 v6, vcc, v6, v7, vcc
	s_cbranch_scc1 .LBB15_16
.LBB15_8:                               ;   Parent Loop BB15_3 Depth=1
                                        ; =>  This Loop Header: Depth=2
                                        ;       Child Loop BB15_11 Depth 3
                                        ;         Child Loop BB15_14 Depth 4
	s_andn2_b64 vcc, exec, s[6:7]
	s_cbranch_vccnz .LBB15_7
; %bb.9:                                ;   in Loop: Header=BB15_8 Depth=2
	s_mul_i32 s0, s73, s17
	s_add_i32 s54, s0, s19
	s_cmp_lt_i32 s54, 0
	v_mov_b32_e32 v7, s74
	s_cselect_b64 s[0:1], -1, 0
	s_cmp_ge_i32 s54, s8
	v_mad_u64_u32 v[7:8], s[54:55], s42, v7, v[3:4]
	s_cselect_b64 s[54:55], -1, 0
	s_or_b64 s[54:55], s[0:1], s[54:55]
	s_mul_i32 s0, s43, s74
	v_mov_b32_e32 v10, v6
	s_mov_b32 s75, 0
	v_add_u32_e32 v8, s0, v8
	v_mov_b32_e32 v25, v24
	v_mov_b32_e32 v9, v5
	s_branch .LBB15_11
.LBB15_10:                              ;   in Loop: Header=BB15_11 Depth=3
	s_add_i32 s75, s75, 1
	v_mov_b32_e32 v11, s49
	v_add_co_u32_e32 v9, vcc, s48, v9
	v_addc_co_u32_e32 v10, vcc, v10, v11, vcc
	s_cmp_eq_u32 s75, s22
	v_add_u32_e32 v25, s18, v25
	s_cbranch_scc1 .LBB15_7
.LBB15_11:                              ;   Parent Loop BB15_3 Depth=1
                                        ;     Parent Loop BB15_8 Depth=2
                                        ; =>    This Loop Header: Depth=3
                                        ;         Child Loop BB15_14 Depth 4
	s_andn2_b64 vcc, exec, s[14:15]
	s_cbranch_vccnz .LBB15_10
; %bb.12:                               ;   in Loop: Header=BB15_11 Depth=3
	v_mad_u64_u32 v[11:12], s[0:1], s40, v25, v[7:8]
	s_mul_i32 s62, s75, s18
	s_mov_b32 s76, s12
	v_mad_u64_u32 v[12:13], s[0:1], s41, v25, v[12:13]
	v_add_u32_e32 v13, s62, v24
	v_cmp_gt_i32_e32 vcc, 0, v13
	v_cmp_le_i32_e64 s[0:1], s9, v13
	s_or_b64 s[0:1], vcc, s[0:1]
	v_mov_b32_e32 v14, v10
	s_nor_b64 s[0:1], s[54:55], s[0:1]
	v_mov_b32_e32 v13, v9
	s_branch .LBB15_14
.LBB15_13:                              ;   in Loop: Header=BB15_14 Depth=4
	s_or_b64 exec, exec, s[62:63]
	v_mov_b32_e32 v26, s47
	v_add_co_u32_e32 v13, vcc, s46, v13
	v_addc_co_u32_e32 v14, vcc, v14, v26, vcc
	s_add_i32 s76, s76, -1
	v_mov_b32_e32 v26, s37
	v_add_co_u32_e32 v11, vcc, s36, v11
	s_cmp_eq_u32 s76, 0
	v_addc_co_u32_e32 v12, vcc, v12, v26, vcc
	s_cbranch_scc1 .LBB15_10
.LBB15_14:                              ;   Parent Loop BB15_3 Depth=1
                                        ;     Parent Loop BB15_8 Depth=2
                                        ;       Parent Loop BB15_11 Depth=3
                                        ; =>      This Inner Loop Header: Depth=4
	s_and_saveexec_b64 s[62:63], s[0:1]
	s_cbranch_execz .LBB15_13
; %bb.15:                               ;   in Loop: Header=BB15_14 Depth=4
	global_load_ushort v26, v[11:12], off
	global_load_ushort v27, v[13:14], off
	s_waitcnt vmcnt(1)
	v_cvt_f32_f16_e32 v26, v26
	s_waitcnt vmcnt(0)
	v_cvt_f32_f16_e32 v28, v27
	v_cvt_f64_f32_e32 v[26:27], v26
	v_cvt_f64_f32_e32 v[28:29], v28
	v_fma_f64 v[1:2], v[26:27], v[28:29], v[1:2]
	s_branch .LBB15_13
.LBB15_16:                              ;   in Loop: Header=BB15_3 Depth=1
	v_ashrrev_i32_e32 v5, 31, v19
	v_mul_lo_u32 v6, s61, v19
	v_mad_u64_u32 v[3:4], s[0:1], s60, v19, 0
	v_mul_lo_u32 v5, s60, v5
	s_and_b64 vcc, exec, s[34:35]
	v_add3_u32 v4, v4, v5, v6
	v_mul_lo_u32 v5, v22, s57
	v_mul_lo_u32 v6, v23, s56
	v_mad_u64_u32 v[3:4], s[0:1], v22, s56, v[3:4]
	v_add3_u32 v4, v6, v4, v5
	v_mul_lo_u32 v5, v20, s59
	v_mul_lo_u32 v6, v21, s58
	v_mad_u64_u32 v[3:4], s[0:1], v20, s58, v[3:4]
	s_mov_b64 s[0:1], -1
	v_add3_u32 v4, v6, v4, v5
	v_lshlrev_b64 v[3:4], 1, v[3:4]
	s_cbranch_vccz .LBB15_18
; %bb.17:                               ;   in Loop: Header=BB15_3 Depth=1
	v_mov_b32_e32 v6, s33
	v_add_co_u32_e32 v5, vcc, s13, v3
	v_addc_co_u32_e32 v6, vcc, v6, v4, vcc
	global_load_ushort v7, v[5:6], off
	s_mov_b64 s[0:1], 0
	s_waitcnt vmcnt(0)
	v_cvt_f32_f16_e32 v7, v7
	v_cvt_f64_f32_e32 v[7:8], v7
	v_mul_f64 v[7:8], s[30:31], v[7:8]
	v_fma_f64 v[7:8], s[28:29], v[1:2], v[7:8]
	v_and_or_b32 v7, v8, s69, v7
	v_cmp_ne_u32_e32 vcc, 0, v7
	v_lshrrev_b32_e32 v9, 8, v8
	v_bfe_u32 v10, v8, 20, 11
	v_cndmask_b32_e64 v7, 0, 1, vcc
	v_sub_u32_e32 v11, 0x3f1, v10
	v_and_or_b32 v7, v9, s70, v7
	v_med3_i32 v9, v11, 0, 13
	v_or_b32_e32 v11, 0x1000, v7
	v_lshrrev_b32_e32 v13, v9, v11
	v_add_u32_e32 v10, 0xfffffc10, v10
	v_cmp_ne_u32_e32 vcc, 0, v7
	v_lshlrev_b32_e32 v9, v9, v13
	v_lshl_or_b32 v12, v10, 12, v7
	v_cndmask_b32_e32 v7, v17, v18, vcc
	v_cmp_ne_u32_e32 vcc, v9, v11
	v_cndmask_b32_e64 v9, 0, 1, vcc
	v_or_b32_e32 v9, v13, v9
	v_cmp_gt_i32_e32 vcc, 1, v10
	v_cndmask_b32_e32 v9, v12, v9, vcc
	v_and_b32_e32 v11, 7, v9
	v_cmp_lt_i32_e32 vcc, 5, v11
	v_cndmask_b32_e64 v12, 0, 1, vcc
	v_cmp_eq_u32_e32 vcc, 3, v11
	v_cndmask_b32_e64 v11, 0, 1, vcc
	v_lshrrev_b32_e32 v9, 2, v9
	v_or_b32_e32 v11, v11, v12
	v_add_u32_e32 v9, v9, v11
	v_cmp_gt_i32_e32 vcc, 31, v10
	v_cndmask_b32_e32 v9, v17, v9, vcc
	v_cmp_eq_u32_e32 vcc, s71, v10
	v_lshrrev_b32_e32 v8, 16, v8
	v_cndmask_b32_e32 v7, v9, v7, vcc
	v_and_or_b32 v7, v8, s72, v7
	global_store_short v[5:6], v7, off
.LBB15_18:                              ;   in Loop: Header=BB15_3 Depth=1
	s_andn2_b64 vcc, exec, s[0:1]
	s_cbranch_vccnz .LBB15_2
; %bb.19:                               ;   in Loop: Header=BB15_3 Depth=1
	v_and_or_b32 v1, v2, s69, v1
	v_cmp_ne_u32_e32 vcc, 0, v1
	v_cndmask_b32_e64 v1, 0, 1, vcc
	v_lshrrev_b32_e32 v5, 8, v2
	v_bfe_u32 v6, v2, 20, 11
	v_and_or_b32 v1, v5, s70, v1
	v_sub_u32_e32 v7, 0x3f1, v6
	v_or_b32_e32 v5, 0x1000, v1
	v_med3_i32 v7, v7, 0, 13
	v_lshrrev_b32_e32 v8, v7, v5
	v_lshlrev_b32_e32 v7, v7, v8
	v_cmp_ne_u32_e32 vcc, v7, v5
	v_cndmask_b32_e64 v5, 0, 1, vcc
	v_add_u32_e32 v6, 0xfffffc10, v6
	v_or_b32_e32 v5, v8, v5
	v_lshl_or_b32 v7, v6, 12, v1
	v_cmp_gt_i32_e32 vcc, 1, v6
	v_cndmask_b32_e32 v5, v7, v5, vcc
	v_and_b32_e32 v7, 7, v5
	v_cmp_lt_i32_e32 vcc, 5, v7
	v_cndmask_b32_e64 v8, 0, 1, vcc
	v_cmp_eq_u32_e32 vcc, 3, v7
	v_cndmask_b32_e64 v7, 0, 1, vcc
	v_or_b32_e32 v7, v7, v8
	v_lshrrev_b32_e32 v5, 2, v5
	v_add_u32_e32 v5, v5, v7
	v_cmp_gt_i32_e32 vcc, 31, v6
	v_cndmask_b32_e32 v5, v17, v5, vcc
	v_cmp_ne_u32_e32 vcc, 0, v1
	v_cndmask_b32_e32 v1, v17, v18, vcc
	v_cmp_eq_u32_e32 vcc, s71, v6
	v_cndmask_b32_e32 v1, v5, v1, vcc
	v_lshrrev_b32_e32 v2, 16, v2
	v_and_or_b32 v5, v2, s72, v1
	v_mov_b32_e32 v2, s33
	v_add_co_u32_e32 v1, vcc, s13, v3
	v_addc_co_u32_e32 v2, vcc, v2, v4, vcc
	global_store_short v[1:2], v5, off
	s_branch .LBB15_2
.LBB15_20:
	s_endpgm
	.section	.rodata,"a",@progbits
	.p2align	6, 0x0
	.amdhsa_kernel naive_conv_ab_nonpacked_fwd_nhwc_half_double_half
		.amdhsa_group_segment_fixed_size 0
		.amdhsa_private_segment_fixed_size 0
		.amdhsa_kernarg_size 480
		.amdhsa_user_sgpr_count 6
		.amdhsa_user_sgpr_private_segment_buffer 1
		.amdhsa_user_sgpr_dispatch_ptr 0
		.amdhsa_user_sgpr_queue_ptr 0
		.amdhsa_user_sgpr_kernarg_segment_ptr 1
		.amdhsa_user_sgpr_dispatch_id 0
		.amdhsa_user_sgpr_flat_scratch_init 0
		.amdhsa_user_sgpr_private_segment_size 0
		.amdhsa_uses_dynamic_stack 0
		.amdhsa_system_sgpr_private_segment_wavefront_offset 0
		.amdhsa_system_sgpr_workgroup_id_x 1
		.amdhsa_system_sgpr_workgroup_id_y 0
		.amdhsa_system_sgpr_workgroup_id_z 0
		.amdhsa_system_sgpr_workgroup_info 0
		.amdhsa_system_vgpr_workitem_id 0
		.amdhsa_next_free_vgpr 30
		.amdhsa_next_free_sgpr 77
		.amdhsa_reserve_vcc 1
		.amdhsa_reserve_flat_scratch 0
		.amdhsa_float_round_mode_32 0
		.amdhsa_float_round_mode_16_64 0
		.amdhsa_float_denorm_mode_32 3
		.amdhsa_float_denorm_mode_16_64 3
		.amdhsa_dx10_clamp 1
		.amdhsa_ieee_mode 1
		.amdhsa_fp16_overflow 0
		.amdhsa_exception_fp_ieee_invalid_op 0
		.amdhsa_exception_fp_denorm_src 0
		.amdhsa_exception_fp_ieee_div_zero 0
		.amdhsa_exception_fp_ieee_overflow 0
		.amdhsa_exception_fp_ieee_underflow 0
		.amdhsa_exception_fp_ieee_inexact 0
		.amdhsa_exception_int_div_zero 0
	.end_amdhsa_kernel
	.text
.Lfunc_end15:
	.size	naive_conv_ab_nonpacked_fwd_nhwc_half_double_half, .Lfunc_end15-naive_conv_ab_nonpacked_fwd_nhwc_half_double_half
                                        ; -- End function
	.set naive_conv_ab_nonpacked_fwd_nhwc_half_double_half.num_vgpr, 30
	.set naive_conv_ab_nonpacked_fwd_nhwc_half_double_half.num_agpr, 0
	.set naive_conv_ab_nonpacked_fwd_nhwc_half_double_half.numbered_sgpr, 77
	.set naive_conv_ab_nonpacked_fwd_nhwc_half_double_half.num_named_barrier, 0
	.set naive_conv_ab_nonpacked_fwd_nhwc_half_double_half.private_seg_size, 0
	.set naive_conv_ab_nonpacked_fwd_nhwc_half_double_half.uses_vcc, 1
	.set naive_conv_ab_nonpacked_fwd_nhwc_half_double_half.uses_flat_scratch, 0
	.set naive_conv_ab_nonpacked_fwd_nhwc_half_double_half.has_dyn_sized_stack, 0
	.set naive_conv_ab_nonpacked_fwd_nhwc_half_double_half.has_recursion, 0
	.set naive_conv_ab_nonpacked_fwd_nhwc_half_double_half.has_indirect_call, 0
	.section	.AMDGPU.csdata,"",@progbits
; Kernel info:
; codeLenInByte = 1964
; TotalNumSgprs: 81
; NumVgprs: 30
; ScratchSize: 0
; MemoryBound: 0
; FloatMode: 240
; IeeeMode: 1
; LDSByteSize: 0 bytes/workgroup (compile time only)
; SGPRBlocks: 10
; VGPRBlocks: 7
; NumSGPRsForWavesPerEU: 81
; NumVGPRsForWavesPerEU: 30
; Occupancy: 8
; WaveLimiterHint : 0
; COMPUTE_PGM_RSRC2:SCRATCH_EN: 0
; COMPUTE_PGM_RSRC2:USER_SGPR: 6
; COMPUTE_PGM_RSRC2:TRAP_HANDLER: 0
; COMPUTE_PGM_RSRC2:TGID_X_EN: 1
; COMPUTE_PGM_RSRC2:TGID_Y_EN: 0
; COMPUTE_PGM_RSRC2:TGID_Z_EN: 0
; COMPUTE_PGM_RSRC2:TIDIG_COMP_CNT: 0
	.text
	.protected	naive_conv_ab_packed_fwd_nhwc_ushort_double_ushort ; -- Begin function naive_conv_ab_packed_fwd_nhwc_ushort_double_ushort
	.globl	naive_conv_ab_packed_fwd_nhwc_ushort_double_ushort
	.p2align	8
	.type	naive_conv_ab_packed_fwd_nhwc_ushort_double_ushort,@function
naive_conv_ab_packed_fwd_nhwc_ushort_double_ushort: ; @naive_conv_ab_packed_fwd_nhwc_ushort_double_ushort
; %bb.0:
	s_load_dwordx16 s[8:23], s[4:5], 0xa0
	s_abs_i32 s1, s6
	s_waitcnt lgkmcnt(0)
	s_abs_i32 s0, s13
	v_cvt_f32_u32_e32 v1, s0
	s_sub_i32 s2, 0, s0
	v_rcp_iflag_f32_e32 v1, v1
	v_mul_f32_e32 v1, 0x4f7ffffe, v1
	v_cvt_u32_f32_e32 v1, v1
	v_readfirstlane_b32 s3, v1
	s_mul_i32 s2, s2, s3
	s_mul_hi_u32 s2, s3, s2
	s_add_i32 s3, s3, s2
	s_mul_hi_u32 s2, s1, s3
	s_mul_i32 s3, s2, s0
	s_sub_i32 s1, s1, s3
	s_add_i32 s7, s2, 1
	s_sub_i32 s3, s1, s0
	s_cmp_ge_u32 s1, s0
	s_cselect_b32 s2, s7, s2
	s_cselect_b32 s1, s3, s1
	s_add_i32 s3, s2, 1
	s_cmp_ge_u32 s1, s0
	s_cselect_b32 s1, s3, s2
	s_abs_i32 s0, s10
	v_cvt_f32_u32_e32 v1, s0
	s_mul_i32 s10, s23, s11
	s_mul_i32 s33, s10, s14
	v_cmp_gt_i32_e32 vcc, s33, v0
	v_rcp_iflag_f32_e32 v1, v1
	v_mul_f32_e32 v1, 0x4f7ffffe, v1
	v_cvt_u32_f32_e32 v1, v1
	v_readfirstlane_b32 s2, v1
	s_and_saveexec_b64 s[24:25], vcc
	s_cbranch_execz .LBB16_20
; %bb.1:
	s_xor_b32 s3, s6, s13
	s_ashr_i32 s3, s3, 31
	s_sub_i32 s36, 0, s0
	s_xor_b32 s1, s1, s3
	s_mul_i32 s36, s36, s2
	s_sub_i32 s1, s1, s3
	s_mul_hi_u32 s36, s2, s36
	s_abs_i32 s7, s1
	s_add_i32 s2, s2, s36
	s_mul_hi_u32 s2, s7, s2
	s_ashr_i32 s3, s1, 31
	s_mul_i32 s1, s1, s13
	s_mul_i32 s2, s2, s0
	s_sub_i32 s6, s6, s1
	s_sub_i32 s1, s7, s2
	;; [unrolled: 1-line block ×3, first 2 shown]
	s_cmp_ge_u32 s1, s0
	s_cselect_b32 s1, s2, s1
	s_sub_i32 s2, s1, s0
	s_cmp_ge_u32 s1, s0
	s_cselect_b32 s0, s2, s1
	s_xor_b32 s0, s0, s3
	s_mul_i32 s23, s23, s12
	s_sub_i32 s38, s0, s3
	s_ashr_i32 s39, s38, 31
	s_ashr_i32 s48, s9, 31
	;; [unrolled: 1-line block ×3, first 2 shown]
	s_mul_i32 s1, s38, s13
	s_ashr_i32 s51, s10, 31
	s_ashr_i32 s2, s6, 31
	s_mul_hi_i32 s0, s38, s13
	s_add_u32 s3, s1, s6
	s_load_dwordx8 s[24:31], s[4:5], 0x0
	s_load_dwordx2 s[34:35], s[4:5], 0x20
	s_addc_u32 s0, s0, s2
	s_mul_hi_i32 s1, s10, s14
	s_mul_i32 s0, s33, s0
	s_mul_hi_u32 s2, s33, s3
	s_add_i32 s0, s2, s0
	s_mul_i32 s1, s1, s3
	s_add_i32 s1, s0, s1
	s_mul_i32 s0, s33, s3
	s_lshl_b64 s[0:1], s[0:1], 1
	s_waitcnt lgkmcnt(0)
	s_add_u32 s52, s34, s0
	s_addc_u32 s53, s35, s1
	s_cmp_lt_i32 s21, 1
	s_mul_i32 s6, s6, s15
	s_cselect_b64 s[2:3], -1, 0
	s_sub_i32 s19, s6, s19
	s_cmp_gt_i32 s22, 0
	s_load_dword s36, s[4:5], 0xec
	s_cselect_b64 s[4:5], -1, 0
	s_cmp_gt_i32 s12, 0
	s_cselect_b64 s[6:7], -1, 0
	s_abs_i32 s55, s10
	v_cvt_f32_u32_e32 v1, s55
	s_abs_i32 s56, s11
	v_cvt_f32_u32_e32 v2, s56
	v_cmp_neq_f64_e64 s[0:1], s[28:29], 1.0
	v_rcp_iflag_f32_e32 v1, v1
	v_cmp_neq_f64_e64 s[34:35], s[30:31], 0
	v_rcp_iflag_f32_e32 v2, v2
	s_sub_i32 s14, 0, s55
	v_mul_f32_e32 v1, 0x4f7ffffe, v1
	v_cvt_u32_f32_e32 v1, v1
	v_mul_f32_e32 v2, 0x4f7ffffe, v2
	v_cvt_u32_f32_e32 v2, v2
	s_mov_b32 s49, s9
	s_ashr_i32 s13, s12, 31
	v_mul_lo_u32 v3, s14, v1
	s_sub_i32 s14, 0, s56
	s_or_b64 s[34:35], s[0:1], s[34:35]
	s_mul_hi_i32 s0, s9, s8
	s_mul_i32 s9, s9, s8
	v_mul_lo_u32 v4, s14, v2
	s_waitcnt lgkmcnt(0)
	s_and_b32 s58, s36, 0xffff
	s_lshl_b64 s[36:37], s[12:13], 1
	s_mul_i32 s1, s9, s39
	s_mul_hi_u32 s13, s9, s38
	s_add_i32 s1, s13, s1
	s_mul_i32 s0, s0, s38
	s_add_i32 s1, s1, s0
	s_mul_i32 s0, s9, s38
	s_ashr_i32 s40, s21, 31
	s_lshl_b64 s[38:39], s[0:1], 1
	s_mul_i32 s0, s22, s12
	v_mul_hi_u32 v3, v1, v3
	v_mul_hi_u32 v4, v2, v4
	s_mul_i32 s1, s0, s40
	s_mul_hi_u32 s9, s0, s21
	s_add_i32 s9, s9, s1
	s_mul_hi_i32 s1, s22, s12
	s_mul_i32 s13, s1, s21
	s_add_i32 s41, s9, s13
	s_mul_i32 s40, s0, s21
	s_ashr_i32 s54, s11, 31
	s_mov_b32 s57, s11
	s_mov_b64 s[14:15], 0
	v_add_u32_e32 v17, v1, v3
	v_add_u32_e32 v18, v2, v4
	s_lshl_b64 s[40:41], s[40:41], 1
	s_lshl_b64 s[42:43], s[0:1], 1
	s_mov_b32 s9, 0x7f800000
	v_mov_b32_e32 v19, 0
	s_branch .LBB16_3
.LBB16_2:                               ;   in Loop: Header=BB16_3 Depth=1
	v_add_u32_e32 v0, s58, v0
	v_cmp_le_i32_e32 vcc, s33, v0
	s_or_b64 s[14:15], vcc, s[14:15]
	s_andn2_b64 exec, exec, s[14:15]
	s_cbranch_execz .LBB16_20
.LBB16_3:                               ; =>This Loop Header: Depth=1
                                        ;     Child Loop BB16_8 Depth 2
                                        ;       Child Loop BB16_11 Depth 3
                                        ;         Child Loop BB16_14 Depth 4
	v_sub_u32_e32 v1, 0, v0
	v_max_i32_e32 v1, v0, v1
	v_mul_hi_u32 v2, v1, v17
	v_ashrrev_i32_e32 v4, 31, v0
	v_xor_b32_e32 v4, s51, v4
	s_mov_b64 s[0:1], -1
	v_mul_lo_u32 v3, v2, s55
	v_add_u32_e32 v5, 1, v2
	v_sub_u32_e32 v1, v1, v3
	v_cmp_le_u32_e32 vcc, s55, v1
	v_subrev_u32_e32 v3, s55, v1
	v_cndmask_b32_e32 v2, v2, v5, vcc
	v_cndmask_b32_e32 v1, v1, v3, vcc
	v_add_u32_e32 v3, 1, v2
	v_cmp_le_u32_e32 vcc, s55, v1
	v_cndmask_b32_e32 v1, v2, v3, vcc
	v_xor_b32_e32 v1, v1, v4
	v_sub_u32_e32 v20, v1, v4
	v_mul_lo_u32 v1, v20, s10
	v_sub_u32_e32 v9, v0, v1
	v_sub_u32_e32 v1, 0, v9
	v_max_i32_e32 v1, v9, v1
	v_mul_hi_u32 v2, v1, v18
	v_ashrrev_i32_e32 v10, 31, v9
	v_xor_b32_e32 v4, s54, v10
	v_mul_lo_u32 v3, v2, s56
	v_add_u32_e32 v5, 1, v2
	v_sub_u32_e32 v1, v1, v3
	v_cmp_le_u32_e32 vcc, s56, v1
	v_subrev_u32_e32 v3, s56, v1
	v_cndmask_b32_e32 v2, v2, v5, vcc
	v_cndmask_b32_e32 v1, v1, v3, vcc
	v_add_u32_e32 v3, 1, v2
	v_cmp_le_u32_e32 vcc, s56, v1
	v_cndmask_b32_e32 v1, v2, v3, vcc
	v_xor_b32_e32 v1, v1, v4
	v_sub_u32_e32 v12, v1, v4
	v_mul_lo_u32 v11, v12, s11
	s_andn2_b64 vcc, exec, s[2:3]
                                        ; implicit-def: $vgpr3_vgpr4
	v_sub_u32_e32 v1, v9, v11
	v_ashrrev_i32_e32 v2, 31, v1
	s_cbranch_vccnz .LBB16_5
; %bb.4:                                ;   in Loop: Header=BB16_3 Depth=1
	v_mad_i64_i32 v[3:4], s[0:1], v12, s57, 0
	s_mov_b64 s[0:1], 0
.LBB16_5:                               ;   in Loop: Header=BB16_3 Depth=1
	v_mov_b32_e32 v5, 0
	v_mov_b32_e32 v6, 0
	s_andn2_b64 vcc, exec, s[0:1]
	s_cbranch_vccnz .LBB16_16
; %bb.6:                                ;   in Loop: Header=BB16_3 Depth=1
	v_mad_i64_i32 v[3:4], s[0:1], v12, s57, 0
	v_mov_b32_e32 v5, s24
	v_mov_b32_e32 v6, s25
	v_mad_u64_u32 v[7:8], s[0:1], s36, v12, v[5:6]
	v_add_co_u32_e32 v5, vcc, v3, v9
	v_addc_co_u32_e32 v6, vcc, v4, v10, vcc
	v_ashrrev_i32_e32 v9, 31, v11
	v_sub_co_u32_e32 v10, vcc, v5, v11
	v_subb_co_u32_e32 v5, vcc, v6, v9, vcc
	v_mul_lo_u32 v11, s40, v5
	v_mov_b32_e32 v5, s26
	v_ashrrev_i32_e32 v14, 31, v12
	v_mov_b32_e32 v6, s27
	v_mul_lo_u32 v13, v20, s16
	v_mul_lo_u32 v12, s37, v12
	;; [unrolled: 1-line block ×4, first 2 shown]
	v_mad_u64_u32 v[9:10], s[0:1], s40, v10, v[5:6]
	v_mov_b32_e32 v5, 0
	v_subrev_u32_e32 v21, s20, v13
	v_add3_u32 v8, v12, v8, v14
	v_add3_u32 v10, v15, v10, v11
	s_mov_b32 s13, 0
	v_mov_b32_e32 v6, 0
	s_mov_b32 s59, s19
	s_branch .LBB16_8
.LBB16_7:                               ;   in Loop: Header=BB16_8 Depth=2
	s_add_i32 s13, s13, 1
	s_add_i32 s59, s59, s17
	v_mov_b32_e32 v11, s43
	v_add_co_u32_e32 v9, vcc, s42, v9
	s_cmp_eq_u32 s13, s21
	v_addc_co_u32_e32 v10, vcc, v10, v11, vcc
	s_cbranch_scc1 .LBB16_16
.LBB16_8:                               ;   Parent Loop BB16_3 Depth=1
                                        ; =>  This Loop Header: Depth=2
                                        ;       Child Loop BB16_11 Depth 3
                                        ;         Child Loop BB16_14 Depth 4
	s_andn2_b64 vcc, exec, s[4:5]
	s_cbranch_vccnz .LBB16_7
; %bb.9:                                ;   in Loop: Header=BB16_8 Depth=2
	s_mul_i32 s0, s48, s59
	s_mul_hi_u32 s1, s49, s59
	s_add_i32 s60, s1, s0
	s_mul_i32 s0, s13, s17
	s_add_i32 s44, s0, s19
	s_cmp_lt_i32 s44, 0
	s_cselect_b64 s[0:1], -1, 0
	s_cmp_ge_i32 s44, s8
	s_cselect_b64 s[44:45], -1, 0
	v_mov_b32_e32 v12, v10
	s_mul_i32 s61, s49, s59
	s_mov_b32 s62, 0
	s_or_b64 s[44:45], s[0:1], s[44:45]
	v_mov_b32_e32 v11, v9
	v_mov_b32_e32 v22, v21
	s_branch .LBB16_11
.LBB16_10:                              ;   in Loop: Header=BB16_11 Depth=3
	s_add_i32 s62, s62, 1
	v_mov_b32_e32 v13, s37
	v_add_co_u32_e32 v11, vcc, s36, v11
	v_add_u32_e32 v22, s18, v22
	s_cmp_eq_u32 s62, s22
	v_addc_co_u32_e32 v12, vcc, v12, v13, vcc
	s_cbranch_scc1 .LBB16_7
.LBB16_11:                              ;   Parent Loop BB16_3 Depth=1
                                        ;     Parent Loop BB16_8 Depth=2
                                        ; =>    This Loop Header: Depth=3
                                        ;         Child Loop BB16_14 Depth 4
	s_andn2_b64 vcc, exec, s[6:7]
	s_cbranch_vccnz .LBB16_10
; %bb.12:                               ;   in Loop: Header=BB16_11 Depth=3
	v_mov_b32_e32 v14, s60
	v_add_co_u32_e32 v13, vcc, s61, v22
	v_addc_co_u32_e32 v14, vcc, 0, v14, vcc
	v_lshlrev_b64 v[13:14], 1, v[13:14]
	v_mov_b32_e32 v15, s39
	v_add_co_u32_e32 v13, vcc, s38, v13
	v_addc_co_u32_e32 v14, vcc, v15, v14, vcc
	v_mul_lo_u32 v15, s23, v14
	v_mul_lo_u32 v16, s50, v13
	v_mad_u64_u32 v[13:14], s[0:1], s23, v13, v[7:8]
	s_mul_i32 s0, s62, s18
	s_mov_b32 s63, s12
	v_add3_u32 v14, v16, v14, v15
	v_add_u32_e32 v15, s0, v21
	v_cmp_gt_i32_e32 vcc, 0, v15
	v_cmp_le_i32_e64 s[0:1], s49, v15
	s_or_b64 s[0:1], vcc, s[0:1]
	v_mov_b32_e32 v16, v12
	s_nor_b64 s[0:1], s[44:45], s[0:1]
	v_mov_b32_e32 v15, v11
	s_branch .LBB16_14
.LBB16_13:                              ;   in Loop: Header=BB16_14 Depth=4
	s_or_b64 exec, exec, s[46:47]
	v_add_co_u32_e32 v13, vcc, 2, v13
	v_addc_co_u32_e32 v14, vcc, 0, v14, vcc
	s_add_i32 s63, s63, -1
	v_add_co_u32_e32 v15, vcc, 2, v15
	s_cmp_eq_u32 s63, 0
	v_addc_co_u32_e32 v16, vcc, 0, v16, vcc
	s_cbranch_scc1 .LBB16_10
.LBB16_14:                              ;   Parent Loop BB16_3 Depth=1
                                        ;     Parent Loop BB16_8 Depth=2
                                        ;       Parent Loop BB16_11 Depth=3
                                        ; =>      This Inner Loop Header: Depth=4
	s_and_saveexec_b64 s[46:47], s[0:1]
	s_cbranch_execz .LBB16_13
; %bb.15:                               ;   in Loop: Header=BB16_14 Depth=4
	global_load_ushort v23, v[13:14], off
	global_load_ushort v24, v[15:16], off
	s_waitcnt vmcnt(1)
	v_lshlrev_b32_e32 v25, 16, v23
	s_waitcnt vmcnt(0)
	v_lshlrev_b32_e32 v23, 16, v24
	v_cvt_f64_f32_e32 v[23:24], v23
	v_cvt_f64_f32_e32 v[25:26], v25
	v_fma_f64 v[5:6], v[25:26], v[23:24], v[5:6]
	s_branch .LBB16_13
.LBB16_16:                              ;   in Loop: Header=BB16_3 Depth=1
	v_mad_i64_i32 v[1:2], s[0:1], v20, s10, v[1:2]
	s_mov_b64 s[0:1], -1
	v_add_co_u32_e32 v1, vcc, v1, v3
	v_addc_co_u32_e32 v2, vcc, v2, v4, vcc
	v_lshlrev_b64 v[1:2], 1, v[1:2]
	s_and_b64 vcc, exec, s[34:35]
	s_cbranch_vccz .LBB16_18
; %bb.17:                               ;   in Loop: Header=BB16_3 Depth=1
	v_mov_b32_e32 v4, s53
	v_add_co_u32_e32 v3, vcc, s52, v1
	v_addc_co_u32_e32 v4, vcc, v4, v2, vcc
	global_load_ushort v7, v[3:4], off
	s_waitcnt vmcnt(0)
	v_lshlrev_b32_e32 v7, 16, v7
	v_cvt_f64_f32_e32 v[7:8], v7
	v_mul_f64 v[7:8], s[30:31], v[7:8]
	v_fma_f64 v[7:8], s[28:29], v[5:6], v[7:8]
	v_cvt_f32_f64_e32 v7, v[7:8]
	v_and_b32_e32 v8, 0x7f800000, v7
	v_cmp_ne_u32_sdwa s[0:1], v7, v19 src0_sel:WORD_0 src1_sel:DWORD
	v_cmp_eq_u32_e32 vcc, s9, v8
	s_and_b64 s[0:1], vcc, s[0:1]
	v_cndmask_b32_e64 v8, 0, 1, s[0:1]
	v_or_b32_sdwa v7, v7, v8 dst_sel:DWORD dst_unused:UNUSED_PAD src0_sel:WORD_1 src1_sel:DWORD
	global_store_short v[3:4], v7, off
	s_mov_b64 s[0:1], 0
.LBB16_18:                              ;   in Loop: Header=BB16_3 Depth=1
	s_andn2_b64 vcc, exec, s[0:1]
	s_cbranch_vccnz .LBB16_2
; %bb.19:                               ;   in Loop: Header=BB16_3 Depth=1
	v_cvt_f32_f64_e32 v3, v[5:6]
	v_mov_b32_e32 v4, s53
	v_and_b32_e32 v5, 0x7f800000, v3
	v_cmp_ne_u32_sdwa s[0:1], v3, v19 src0_sel:WORD_0 src1_sel:DWORD
	v_cmp_eq_u32_e32 vcc, s9, v5
	s_and_b64 s[0:1], vcc, s[0:1]
	v_cndmask_b32_e64 v5, 0, 1, s[0:1]
	v_add_co_u32_e32 v1, vcc, s52, v1
	v_or_b32_sdwa v3, v3, v5 dst_sel:DWORD dst_unused:UNUSED_PAD src0_sel:WORD_1 src1_sel:DWORD
	v_addc_co_u32_e32 v2, vcc, v4, v2, vcc
	global_store_short v[1:2], v3, off
	s_branch .LBB16_2
.LBB16_20:
	s_endpgm
	.section	.rodata,"a",@progbits
	.p2align	6, 0x0
	.amdhsa_kernel naive_conv_ab_packed_fwd_nhwc_ushort_double_ushort
		.amdhsa_group_segment_fixed_size 0
		.amdhsa_private_segment_fixed_size 0
		.amdhsa_kernarg_size 480
		.amdhsa_user_sgpr_count 6
		.amdhsa_user_sgpr_private_segment_buffer 1
		.amdhsa_user_sgpr_dispatch_ptr 0
		.amdhsa_user_sgpr_queue_ptr 0
		.amdhsa_user_sgpr_kernarg_segment_ptr 1
		.amdhsa_user_sgpr_dispatch_id 0
		.amdhsa_user_sgpr_flat_scratch_init 0
		.amdhsa_user_sgpr_private_segment_size 0
		.amdhsa_uses_dynamic_stack 0
		.amdhsa_system_sgpr_private_segment_wavefront_offset 0
		.amdhsa_system_sgpr_workgroup_id_x 1
		.amdhsa_system_sgpr_workgroup_id_y 0
		.amdhsa_system_sgpr_workgroup_id_z 0
		.amdhsa_system_sgpr_workgroup_info 0
		.amdhsa_system_vgpr_workitem_id 0
		.amdhsa_next_free_vgpr 27
		.amdhsa_next_free_sgpr 64
		.amdhsa_reserve_vcc 1
		.amdhsa_reserve_flat_scratch 0
		.amdhsa_float_round_mode_32 0
		.amdhsa_float_round_mode_16_64 0
		.amdhsa_float_denorm_mode_32 3
		.amdhsa_float_denorm_mode_16_64 3
		.amdhsa_dx10_clamp 1
		.amdhsa_ieee_mode 1
		.amdhsa_fp16_overflow 0
		.amdhsa_exception_fp_ieee_invalid_op 0
		.amdhsa_exception_fp_denorm_src 0
		.amdhsa_exception_fp_ieee_div_zero 0
		.amdhsa_exception_fp_ieee_overflow 0
		.amdhsa_exception_fp_ieee_underflow 0
		.amdhsa_exception_fp_ieee_inexact 0
		.amdhsa_exception_int_div_zero 0
	.end_amdhsa_kernel
	.text
.Lfunc_end16:
	.size	naive_conv_ab_packed_fwd_nhwc_ushort_double_ushort, .Lfunc_end16-naive_conv_ab_packed_fwd_nhwc_ushort_double_ushort
                                        ; -- End function
	.set naive_conv_ab_packed_fwd_nhwc_ushort_double_ushort.num_vgpr, 27
	.set naive_conv_ab_packed_fwd_nhwc_ushort_double_ushort.num_agpr, 0
	.set naive_conv_ab_packed_fwd_nhwc_ushort_double_ushort.numbered_sgpr, 64
	.set naive_conv_ab_packed_fwd_nhwc_ushort_double_ushort.num_named_barrier, 0
	.set naive_conv_ab_packed_fwd_nhwc_ushort_double_ushort.private_seg_size, 0
	.set naive_conv_ab_packed_fwd_nhwc_ushort_double_ushort.uses_vcc, 1
	.set naive_conv_ab_packed_fwd_nhwc_ushort_double_ushort.uses_flat_scratch, 0
	.set naive_conv_ab_packed_fwd_nhwc_ushort_double_ushort.has_dyn_sized_stack, 0
	.set naive_conv_ab_packed_fwd_nhwc_ushort_double_ushort.has_recursion, 0
	.set naive_conv_ab_packed_fwd_nhwc_ushort_double_ushort.has_indirect_call, 0
	.section	.AMDGPU.csdata,"",@progbits
; Kernel info:
; codeLenInByte = 1572
; TotalNumSgprs: 68
; NumVgprs: 27
; ScratchSize: 0
; MemoryBound: 0
; FloatMode: 240
; IeeeMode: 1
; LDSByteSize: 0 bytes/workgroup (compile time only)
; SGPRBlocks: 8
; VGPRBlocks: 6
; NumSGPRsForWavesPerEU: 68
; NumVGPRsForWavesPerEU: 27
; Occupancy: 9
; WaveLimiterHint : 0
; COMPUTE_PGM_RSRC2:SCRATCH_EN: 0
; COMPUTE_PGM_RSRC2:USER_SGPR: 6
; COMPUTE_PGM_RSRC2:TRAP_HANDLER: 0
; COMPUTE_PGM_RSRC2:TGID_X_EN: 1
; COMPUTE_PGM_RSRC2:TGID_Y_EN: 0
; COMPUTE_PGM_RSRC2:TGID_Z_EN: 0
; COMPUTE_PGM_RSRC2:TIDIG_COMP_CNT: 0
	.text
	.protected	naive_conv_ab_nonpacked_fwd_nhwc_ushort_double_ushort ; -- Begin function naive_conv_ab_nonpacked_fwd_nhwc_ushort_double_ushort
	.globl	naive_conv_ab_nonpacked_fwd_nhwc_ushort_double_ushort
	.p2align	8
	.type	naive_conv_ab_nonpacked_fwd_nhwc_ushort_double_ushort,@function
naive_conv_ab_nonpacked_fwd_nhwc_ushort_double_ushort: ; @naive_conv_ab_nonpacked_fwd_nhwc_ushort_double_ushort
; %bb.0:
	s_load_dwordx16 s[8:23], s[4:5], 0xa0
	s_abs_i32 s1, s6
	s_waitcnt lgkmcnt(0)
	s_abs_i32 s0, s13
	v_cvt_f32_u32_e32 v1, s0
	s_sub_i32 s2, 0, s0
	v_rcp_iflag_f32_e32 v1, v1
	v_mul_f32_e32 v1, 0x4f7ffffe, v1
	v_cvt_u32_f32_e32 v1, v1
	v_readfirstlane_b32 s3, v1
	s_mul_i32 s2, s2, s3
	s_mul_hi_u32 s2, s3, s2
	s_add_i32 s3, s3, s2
	s_mul_hi_u32 s2, s1, s3
	s_mul_i32 s3, s2, s0
	s_sub_i32 s1, s1, s3
	s_add_i32 s7, s2, 1
	s_sub_i32 s3, s1, s0
	s_cmp_ge_u32 s1, s0
	s_cselect_b32 s2, s7, s2
	s_cselect_b32 s1, s3, s1
	s_add_i32 s3, s2, 1
	s_cmp_ge_u32 s1, s0
	s_cselect_b32 s1, s3, s2
	s_abs_i32 s0, s10
	v_cvt_f32_u32_e32 v1, s0
	s_mul_i32 s10, s23, s11
	s_mul_i32 s23, s10, s14
	v_cmp_gt_i32_e32 vcc, s23, v0
	v_rcp_iflag_f32_e32 v1, v1
	v_mul_f32_e32 v1, 0x4f7ffffe, v1
	v_cvt_u32_f32_e32 v1, v1
	v_readfirstlane_b32 s2, v1
	s_and_saveexec_b64 s[24:25], vcc
	s_cbranch_execz .LBB17_20
; %bb.1:
	s_xor_b32 s3, s6, s13
	s_ashr_i32 s3, s3, 31
	s_xor_b32 s1, s1, s3
	s_sub_i32 s1, s1, s3
	s_sub_i32 s3, 0, s0
	s_mul_i32 s3, s3, s2
	s_mul_hi_u32 s3, s2, s3
	s_abs_i32 s14, s1
	s_add_i32 s2, s2, s3
	s_mul_hi_u32 s33, s14, s2
	s_ashr_i32 s7, s1, 31
	s_mul_i32 s1, s1, s13
	s_mul_i32 s33, s33, s0
	s_sub_i32 s6, s6, s1
	s_sub_i32 s1, s14, s33
	;; [unrolled: 1-line block ×3, first 2 shown]
	s_cmp_ge_u32 s1, s0
	s_cselect_b32 s1, s13, s1
	s_sub_i32 s13, s1, s0
	s_cmp_ge_u32 s1, s0
	s_load_dwordx8 s[24:31], s[4:5], 0x0
	s_load_dwordx2 s[34:35], s[4:5], 0x20
	s_load_dwordx2 s[2:3], s[4:5], 0x98
	s_load_dwordx4 s[60:63], s[4:5], 0x88
	s_cselect_b32 s0, s13, s1
	s_xor_b32 s0, s0, s7
	s_sub_i32 s52, s0, s7
	s_ashr_i32 s53, s52, 31
	s_waitcnt lgkmcnt(0)
	s_mul_i32 s0, s2, s53
	s_mul_hi_u32 s1, s2, s52
	s_add_i32 s0, s1, s0
	s_mul_i32 s1, s3, s52
	s_add_i32 s1, s0, s1
	s_mul_i32 s0, s2, s52
	s_ashr_i32 s2, s6, 31
	s_mul_i32 s2, s62, s2
	s_mul_hi_u32 s3, s62, s6
	s_add_i32 s2, s3, s2
	s_mul_i32 s3, s63, s6
	s_add_i32 s3, s2, s3
	s_lshl_b64 s[0:1], s[0:1], 1
	s_mul_i32 s2, s62, s6
	s_add_u32 s7, s34, s0
	s_addc_u32 s14, s35, s1
	s_lshl_b64 s[0:1], s[2:3], 1
	s_add_u32 s13, s7, s0
	s_addc_u32 s33, s14, s1
	s_cmp_lt_i32 s21, 1
	s_mul_i32 s6, s6, s15
	s_cselect_b64 s[2:3], -1, 0
	s_sub_i32 s19, s6, s19
	s_cmp_gt_i32 s22, 0
	s_cselect_b64 s[6:7], -1, 0
	s_cmp_gt_i32 s12, 0
	s_cselect_b64 s[14:15], -1, 0
	s_abs_i32 s66, s10
	s_abs_i32 s68, s11
	v_cvt_f32_u32_e32 v1, s66
	v_cvt_f32_u32_e32 v2, s68
	v_cmp_neq_f64_e64 s[0:1], s[28:29], 1.0
	v_cmp_neq_f64_e64 s[34:35], s[30:31], 0
	s_load_dwordx16 s[36:51], s[4:5], 0x28
	v_rcp_iflag_f32_e32 v1, v1
	v_rcp_iflag_f32_e32 v2, v2
	s_sub_i32 s62, 0, s66
	s_sub_i32 s63, 0, s68
	v_mul_f32_e32 v1, 0x4f7ffffe, v1
	v_mul_f32_e32 v2, 0x4f7ffffe, v2
	s_or_b64 s[34:35], s[0:1], s[34:35]
	s_waitcnt lgkmcnt(0)
	s_mul_i32 s0, s44, s53
	s_load_dword s53, s[4:5], 0xec
	v_cvt_u32_f32_e32 v1, v1
	v_cvt_u32_f32_e32 v2, v2
	s_mul_hi_u32 s1, s44, s52
	s_add_i32 s0, s1, s0
	s_mul_i32 s1, s45, s52
	v_mul_lo_u32 v3, s62, v1
	v_mul_lo_u32 v4, s63, v2
	s_add_i32 s1, s0, s1
	s_mul_i32 s0, s44, s52
	s_waitcnt lgkmcnt(0)
	s_and_b32 s64, s53, 0xffff
	s_load_dwordx8 s[52:59], s[4:5], 0x68
	v_mul_hi_u32 v3, v1, v3
	v_mul_hi_u32 v4, v2, v4
	s_lshl_b64 s[0:1], s[0:1], 1
	s_ashr_i32 s65, s10, 31
	s_ashr_i32 s67, s11, 31
	s_waitcnt lgkmcnt(0)
	s_lshl_b64 s[4:5], s[52:53], 1
	s_lshl_b64 s[44:45], s[54:55], 1
	;; [unrolled: 1-line block ×5, first 2 shown]
	s_add_u32 s24, s24, s0
	s_addc_u32 s25, s25, s1
	s_lshl_b64 s[38:39], s[38:39], 1
	s_lshl_b64 s[42:43], s[42:43], 1
	;; [unrolled: 1-line block ×4, first 2 shown]
	v_add_u32_e32 v15, v1, v3
	v_add_u32_e32 v16, v2, v4
	v_mov_b32_e32 v17, 0
	s_mov_b32 s69, 0x7f800000
	s_mov_b64 s[52:53], 0
	s_branch .LBB17_3
.LBB17_2:                               ;   in Loop: Header=BB17_3 Depth=1
	v_add_u32_e32 v0, s64, v0
	v_cmp_le_i32_e32 vcc, s23, v0
	s_or_b64 s[52:53], vcc, s[52:53]
	s_andn2_b64 exec, exec, s[52:53]
	s_cbranch_execz .LBB17_20
.LBB17_3:                               ; =>This Loop Header: Depth=1
                                        ;     Child Loop BB17_8 Depth 2
                                        ;       Child Loop BB17_11 Depth 3
                                        ;         Child Loop BB17_14 Depth 4
	v_sub_u32_e32 v1, 0, v0
	v_max_i32_e32 v1, v0, v1
	v_mul_hi_u32 v2, v1, v15
	v_ashrrev_i32_e32 v4, 31, v0
	v_xor_b32_e32 v4, s65, v4
	s_mov_b64 s[0:1], -1
	v_mul_lo_u32 v3, v2, s66
	v_add_u32_e32 v5, 1, v2
	v_sub_u32_e32 v1, v1, v3
	v_cmp_le_u32_e32 vcc, s66, v1
	v_subrev_u32_e32 v3, s66, v1
	v_cndmask_b32_e32 v2, v2, v5, vcc
	v_cndmask_b32_e32 v1, v1, v3, vcc
	v_add_u32_e32 v3, 1, v2
	v_cmp_le_u32_e32 vcc, s66, v1
	v_cndmask_b32_e32 v1, v2, v3, vcc
	v_xor_b32_e32 v1, v1, v4
	v_sub_u32_e32 v18, v1, v4
	v_mul_lo_u32 v1, v18, s10
	v_sub_u32_e32 v3, v0, v1
	v_sub_u32_e32 v1, 0, v3
	v_max_i32_e32 v1, v3, v1
	v_mul_hi_u32 v2, v1, v16
	v_ashrrev_i32_e32 v4, 31, v3
	v_xor_b32_e32 v6, s67, v4
	v_mul_lo_u32 v5, v2, s68
	v_add_u32_e32 v7, 1, v2
	v_sub_u32_e32 v1, v1, v5
	v_cmp_le_u32_e32 vcc, s68, v1
	v_subrev_u32_e32 v5, s68, v1
	v_cndmask_b32_e32 v2, v2, v7, vcc
	v_cndmask_b32_e32 v1, v1, v5, vcc
	v_add_u32_e32 v5, 1, v2
	v_cmp_le_u32_e32 vcc, s68, v1
	v_cndmask_b32_e32 v1, v2, v5, vcc
	v_xor_b32_e32 v1, v1, v6
	v_sub_u32_e32 v19, v1, v6
	v_mul_lo_u32 v5, v19, s11
	s_andn2_b64 vcc, exec, s[2:3]
	v_ashrrev_i32_e32 v20, 31, v19
	v_sub_u32_e32 v21, v3, v5
	v_ashrrev_i32_e32 v22, 31, v21
	s_cbranch_vccnz .LBB17_5
; %bb.4:                                ;   in Loop: Header=BB17_3 Depth=1
	s_mov_b64 s[0:1], 0
.LBB17_5:                               ;   in Loop: Header=BB17_3 Depth=1
	v_mov_b32_e32 v1, 0
	v_mov_b32_e32 v2, 0
	s_andn2_b64 vcc, exec, s[0:1]
	s_cbranch_vccnz .LBB17_16
; %bb.6:                                ;   in Loop: Header=BB17_3 Depth=1
	v_mul_lo_u32 v8, s45, v19
	v_mul_lo_u32 v9, s44, v20
	v_mad_u64_u32 v[1:2], s[0:1], s44, v19, 0
	v_ashrrev_i32_e32 v7, 31, v5
	v_sub_co_u32_e32 v3, vcc, v3, v5
	v_subb_co_u32_e32 v4, vcc, v4, v7, vcc
	v_add3_u32 v2, v2, v9, v8
	v_mul_lo_u32 v6, v18, s16
	v_mad_u64_u32 v[1:2], s[0:1], s4, v3, v[1:2]
	v_mul_lo_u32 v4, s4, v4
	v_mul_lo_u32 v3, s5, v3
	v_subrev_u32_e32 v23, s20, v6
	v_mul_lo_u32 v8, s38, v20
	v_mov_b32_e32 v7, s27
	v_add3_u32 v6, v3, v2, v4
	v_mov_b32_e32 v2, s24
	v_mov_b32_e32 v3, s25
	v_mad_u64_u32 v[3:4], s[0:1], s38, v19, v[2:3]
	v_mul_lo_u32 v2, s39, v19
	v_add_co_u32_e32 v5, vcc, s26, v1
	v_addc_co_u32_e32 v6, vcc, v7, v6, vcc
	v_add3_u32 v4, v2, v4, v8
	v_mov_b32_e32 v1, 0
	s_mov_b32 s70, 0
	v_mov_b32_e32 v2, 0
	s_mov_b32 s71, s19
	s_branch .LBB17_8
.LBB17_7:                               ;   in Loop: Header=BB17_8 Depth=2
	s_add_i32 s70, s70, 1
	v_mov_b32_e32 v7, s51
	s_add_i32 s71, s71, s17
	v_add_co_u32_e32 v5, vcc, s50, v5
	s_cmp_eq_u32 s70, s21
	v_addc_co_u32_e32 v6, vcc, v6, v7, vcc
	s_cbranch_scc1 .LBB17_16
.LBB17_8:                               ;   Parent Loop BB17_3 Depth=1
                                        ; =>  This Loop Header: Depth=2
                                        ;       Child Loop BB17_11 Depth 3
                                        ;         Child Loop BB17_14 Depth 4
	s_andn2_b64 vcc, exec, s[6:7]
	s_cbranch_vccnz .LBB17_7
; %bb.9:                                ;   in Loop: Header=BB17_8 Depth=2
	s_mul_i32 s0, s70, s17
	s_add_i32 s54, s0, s19
	s_cmp_lt_i32 s54, 0
	v_mov_b32_e32 v7, s71
	s_cselect_b64 s[0:1], -1, 0
	s_cmp_ge_i32 s54, s8
	v_mad_u64_u32 v[7:8], s[54:55], s42, v7, v[3:4]
	s_cselect_b64 s[54:55], -1, 0
	s_or_b64 s[54:55], s[0:1], s[54:55]
	s_mul_i32 s0, s43, s71
	v_mov_b32_e32 v10, v6
	s_mov_b32 s72, 0
	v_add_u32_e32 v8, s0, v8
	v_mov_b32_e32 v24, v23
	v_mov_b32_e32 v9, v5
	s_branch .LBB17_11
.LBB17_10:                              ;   in Loop: Header=BB17_11 Depth=3
	s_add_i32 s72, s72, 1
	v_mov_b32_e32 v11, s49
	v_add_co_u32_e32 v9, vcc, s48, v9
	v_addc_co_u32_e32 v10, vcc, v10, v11, vcc
	s_cmp_eq_u32 s72, s22
	v_add_u32_e32 v24, s18, v24
	s_cbranch_scc1 .LBB17_7
.LBB17_11:                              ;   Parent Loop BB17_3 Depth=1
                                        ;     Parent Loop BB17_8 Depth=2
                                        ; =>    This Loop Header: Depth=3
                                        ;         Child Loop BB17_14 Depth 4
	s_andn2_b64 vcc, exec, s[14:15]
	s_cbranch_vccnz .LBB17_10
; %bb.12:                               ;   in Loop: Header=BB17_11 Depth=3
	v_mad_u64_u32 v[11:12], s[0:1], s40, v24, v[7:8]
	s_mul_i32 s62, s72, s18
	s_mov_b32 s73, s12
	v_mad_u64_u32 v[12:13], s[0:1], s41, v24, v[12:13]
	v_add_u32_e32 v13, s62, v23
	v_cmp_gt_i32_e32 vcc, 0, v13
	v_cmp_le_i32_e64 s[0:1], s9, v13
	s_or_b64 s[0:1], vcc, s[0:1]
	v_mov_b32_e32 v14, v10
	s_nor_b64 s[0:1], s[54:55], s[0:1]
	v_mov_b32_e32 v13, v9
	s_branch .LBB17_14
.LBB17_13:                              ;   in Loop: Header=BB17_14 Depth=4
	s_or_b64 exec, exec, s[62:63]
	v_mov_b32_e32 v25, s47
	v_add_co_u32_e32 v13, vcc, s46, v13
	v_addc_co_u32_e32 v14, vcc, v14, v25, vcc
	s_add_i32 s73, s73, -1
	v_mov_b32_e32 v25, s37
	v_add_co_u32_e32 v11, vcc, s36, v11
	s_cmp_eq_u32 s73, 0
	v_addc_co_u32_e32 v12, vcc, v12, v25, vcc
	s_cbranch_scc1 .LBB17_10
.LBB17_14:                              ;   Parent Loop BB17_3 Depth=1
                                        ;     Parent Loop BB17_8 Depth=2
                                        ;       Parent Loop BB17_11 Depth=3
                                        ; =>      This Inner Loop Header: Depth=4
	s_and_saveexec_b64 s[62:63], s[0:1]
	s_cbranch_execz .LBB17_13
; %bb.15:                               ;   in Loop: Header=BB17_14 Depth=4
	global_load_ushort v25, v[11:12], off
	global_load_ushort v26, v[13:14], off
	s_waitcnt vmcnt(1)
	v_lshlrev_b32_e32 v27, 16, v25
	s_waitcnt vmcnt(0)
	v_lshlrev_b32_e32 v25, 16, v26
	v_cvt_f64_f32_e32 v[25:26], v25
	v_cvt_f64_f32_e32 v[27:28], v27
	v_fma_f64 v[1:2], v[27:28], v[25:26], v[1:2]
	s_branch .LBB17_13
.LBB17_16:                              ;   in Loop: Header=BB17_3 Depth=1
	v_ashrrev_i32_e32 v5, 31, v18
	v_mul_lo_u32 v6, s61, v18
	v_mad_u64_u32 v[3:4], s[0:1], s60, v18, 0
	v_mul_lo_u32 v5, s60, v5
	s_and_b64 vcc, exec, s[34:35]
	v_add3_u32 v4, v4, v5, v6
	v_mul_lo_u32 v5, v21, s57
	v_mul_lo_u32 v6, v22, s56
	v_mad_u64_u32 v[3:4], s[0:1], v21, s56, v[3:4]
	v_add3_u32 v4, v6, v4, v5
	v_mul_lo_u32 v5, v19, s59
	v_mul_lo_u32 v6, v20, s58
	v_mad_u64_u32 v[3:4], s[0:1], v19, s58, v[3:4]
	s_mov_b64 s[0:1], -1
	v_add3_u32 v4, v6, v4, v5
	v_lshlrev_b64 v[3:4], 1, v[3:4]
	s_cbranch_vccz .LBB17_18
; %bb.17:                               ;   in Loop: Header=BB17_3 Depth=1
	v_mov_b32_e32 v6, s33
	v_add_co_u32_e32 v5, vcc, s13, v3
	v_addc_co_u32_e32 v6, vcc, v6, v4, vcc
	global_load_ushort v7, v[5:6], off
	s_waitcnt vmcnt(0)
	v_lshlrev_b32_e32 v7, 16, v7
	v_cvt_f64_f32_e32 v[7:8], v7
	v_mul_f64 v[7:8], s[30:31], v[7:8]
	v_fma_f64 v[7:8], s[28:29], v[1:2], v[7:8]
	v_cvt_f32_f64_e32 v7, v[7:8]
	v_and_b32_e32 v8, 0x7f800000, v7
	v_cmp_ne_u32_sdwa s[0:1], v7, v17 src0_sel:WORD_0 src1_sel:DWORD
	v_cmp_eq_u32_e32 vcc, s69, v8
	s_and_b64 s[0:1], vcc, s[0:1]
	v_cndmask_b32_e64 v8, 0, 1, s[0:1]
	v_or_b32_sdwa v7, v7, v8 dst_sel:DWORD dst_unused:UNUSED_PAD src0_sel:WORD_1 src1_sel:DWORD
	global_store_short v[5:6], v7, off
	s_mov_b64 s[0:1], 0
.LBB17_18:                              ;   in Loop: Header=BB17_3 Depth=1
	s_andn2_b64 vcc, exec, s[0:1]
	s_cbranch_vccnz .LBB17_2
; %bb.19:                               ;   in Loop: Header=BB17_3 Depth=1
	v_cvt_f32_f64_e32 v1, v[1:2]
	v_mov_b32_e32 v2, s33
	v_and_b32_e32 v5, 0x7f800000, v1
	v_cmp_ne_u32_sdwa s[0:1], v1, v17 src0_sel:WORD_0 src1_sel:DWORD
	v_cmp_eq_u32_e32 vcc, s69, v5
	s_and_b64 s[0:1], vcc, s[0:1]
	v_cndmask_b32_e64 v5, 0, 1, s[0:1]
	v_or_b32_sdwa v5, v1, v5 dst_sel:DWORD dst_unused:UNUSED_PAD src0_sel:WORD_1 src1_sel:DWORD
	v_add_co_u32_e32 v1, vcc, s13, v3
	v_addc_co_u32_e32 v2, vcc, v2, v4, vcc
	global_store_short v[1:2], v5, off
	s_branch .LBB17_2
.LBB17_20:
	s_endpgm
	.section	.rodata,"a",@progbits
	.p2align	6, 0x0
	.amdhsa_kernel naive_conv_ab_nonpacked_fwd_nhwc_ushort_double_ushort
		.amdhsa_group_segment_fixed_size 0
		.amdhsa_private_segment_fixed_size 0
		.amdhsa_kernarg_size 480
		.amdhsa_user_sgpr_count 6
		.amdhsa_user_sgpr_private_segment_buffer 1
		.amdhsa_user_sgpr_dispatch_ptr 0
		.amdhsa_user_sgpr_queue_ptr 0
		.amdhsa_user_sgpr_kernarg_segment_ptr 1
		.amdhsa_user_sgpr_dispatch_id 0
		.amdhsa_user_sgpr_flat_scratch_init 0
		.amdhsa_user_sgpr_private_segment_size 0
		.amdhsa_uses_dynamic_stack 0
		.amdhsa_system_sgpr_private_segment_wavefront_offset 0
		.amdhsa_system_sgpr_workgroup_id_x 1
		.amdhsa_system_sgpr_workgroup_id_y 0
		.amdhsa_system_sgpr_workgroup_id_z 0
		.amdhsa_system_sgpr_workgroup_info 0
		.amdhsa_system_vgpr_workitem_id 0
		.amdhsa_next_free_vgpr 29
		.amdhsa_next_free_sgpr 74
		.amdhsa_reserve_vcc 1
		.amdhsa_reserve_flat_scratch 0
		.amdhsa_float_round_mode_32 0
		.amdhsa_float_round_mode_16_64 0
		.amdhsa_float_denorm_mode_32 3
		.amdhsa_float_denorm_mode_16_64 3
		.amdhsa_dx10_clamp 1
		.amdhsa_ieee_mode 1
		.amdhsa_fp16_overflow 0
		.amdhsa_exception_fp_ieee_invalid_op 0
		.amdhsa_exception_fp_denorm_src 0
		.amdhsa_exception_fp_ieee_div_zero 0
		.amdhsa_exception_fp_ieee_overflow 0
		.amdhsa_exception_fp_ieee_underflow 0
		.amdhsa_exception_fp_ieee_inexact 0
		.amdhsa_exception_int_div_zero 0
	.end_amdhsa_kernel
	.text
.Lfunc_end17:
	.size	naive_conv_ab_nonpacked_fwd_nhwc_ushort_double_ushort, .Lfunc_end17-naive_conv_ab_nonpacked_fwd_nhwc_ushort_double_ushort
                                        ; -- End function
	.set naive_conv_ab_nonpacked_fwd_nhwc_ushort_double_ushort.num_vgpr, 29
	.set naive_conv_ab_nonpacked_fwd_nhwc_ushort_double_ushort.num_agpr, 0
	.set naive_conv_ab_nonpacked_fwd_nhwc_ushort_double_ushort.numbered_sgpr, 74
	.set naive_conv_ab_nonpacked_fwd_nhwc_ushort_double_ushort.num_named_barrier, 0
	.set naive_conv_ab_nonpacked_fwd_nhwc_ushort_double_ushort.private_seg_size, 0
	.set naive_conv_ab_nonpacked_fwd_nhwc_ushort_double_ushort.uses_vcc, 1
	.set naive_conv_ab_nonpacked_fwd_nhwc_ushort_double_ushort.uses_flat_scratch, 0
	.set naive_conv_ab_nonpacked_fwd_nhwc_ushort_double_ushort.has_dyn_sized_stack, 0
	.set naive_conv_ab_nonpacked_fwd_nhwc_ushort_double_ushort.has_recursion, 0
	.set naive_conv_ab_nonpacked_fwd_nhwc_ushort_double_ushort.has_indirect_call, 0
	.section	.AMDGPU.csdata,"",@progbits
; Kernel info:
; codeLenInByte = 1652
; TotalNumSgprs: 78
; NumVgprs: 29
; ScratchSize: 0
; MemoryBound: 0
; FloatMode: 240
; IeeeMode: 1
; LDSByteSize: 0 bytes/workgroup (compile time only)
; SGPRBlocks: 9
; VGPRBlocks: 7
; NumSGPRsForWavesPerEU: 78
; NumVGPRsForWavesPerEU: 29
; Occupancy: 8
; WaveLimiterHint : 0
; COMPUTE_PGM_RSRC2:SCRATCH_EN: 0
; COMPUTE_PGM_RSRC2:USER_SGPR: 6
; COMPUTE_PGM_RSRC2:TRAP_HANDLER: 0
; COMPUTE_PGM_RSRC2:TGID_X_EN: 1
; COMPUTE_PGM_RSRC2:TGID_Y_EN: 0
; COMPUTE_PGM_RSRC2:TGID_Z_EN: 0
; COMPUTE_PGM_RSRC2:TIDIG_COMP_CNT: 0
	.text
	.protected	naive_conv_ab_packed_fwd_nhwc_int8_t_int32_t_int8_t ; -- Begin function naive_conv_ab_packed_fwd_nhwc_int8_t_int32_t_int8_t
	.globl	naive_conv_ab_packed_fwd_nhwc_int8_t_int32_t_int8_t
	.p2align	8
	.type	naive_conv_ab_packed_fwd_nhwc_int8_t_int32_t_int8_t,@function
naive_conv_ab_packed_fwd_nhwc_int8_t_int32_t_int8_t: ; @naive_conv_ab_packed_fwd_nhwc_int8_t_int32_t_int8_t
; %bb.0:
	s_load_dwordx16 s[8:23], s[4:5], 0xa0
	s_abs_i32 s1, s6
	s_waitcnt lgkmcnt(0)
	s_abs_i32 s0, s13
	v_cvt_f32_u32_e32 v1, s0
	s_sub_i32 s2, 0, s0
	v_rcp_iflag_f32_e32 v1, v1
	v_mul_f32_e32 v1, 0x4f7ffffe, v1
	v_cvt_u32_f32_e32 v1, v1
	v_readfirstlane_b32 s3, v1
	s_mul_i32 s2, s2, s3
	s_mul_hi_u32 s2, s3, s2
	s_add_i32 s3, s3, s2
	s_mul_hi_u32 s2, s1, s3
	s_mul_i32 s3, s2, s0
	s_sub_i32 s1, s1, s3
	s_add_i32 s7, s2, 1
	s_sub_i32 s3, s1, s0
	s_cmp_ge_u32 s1, s0
	s_cselect_b32 s2, s7, s2
	s_cselect_b32 s1, s3, s1
	s_add_i32 s3, s2, 1
	s_cmp_ge_u32 s1, s0
	s_cselect_b32 s1, s3, s2
	s_abs_i32 s0, s10
	v_cvt_f32_u32_e32 v1, s0
	s_mul_i32 s10, s23, s11
	s_mul_i32 s33, s10, s14
	v_cmp_gt_i32_e32 vcc, s33, v0
	v_rcp_iflag_f32_e32 v1, v1
	v_mul_f32_e32 v1, 0x4f7ffffe, v1
	v_cvt_u32_f32_e32 v1, v1
	v_readfirstlane_b32 s2, v1
	s_and_saveexec_b64 s[24:25], vcc
	s_cbranch_execz .LBB18_18
; %bb.1:
	s_xor_b32 s3, s6, s13
	s_ashr_i32 s3, s3, 31
	s_sub_i32 s36, 0, s0
	s_xor_b32 s1, s1, s3
	s_mul_i32 s36, s36, s2
	s_sub_i32 s1, s1, s3
	s_mul_hi_u32 s36, s2, s36
	s_abs_i32 s7, s1
	s_add_i32 s2, s2, s36
	s_mul_hi_u32 s2, s7, s2
	s_mul_i32 s2, s2, s0
	s_ashr_i32 s3, s1, 31
	s_mul_i32 s1, s1, s13
	s_sub_i32 s2, s7, s2
	s_sub_i32 s1, s6, s1
	;; [unrolled: 1-line block ×3, first 2 shown]
	s_cmp_ge_u32 s2, s0
	s_cselect_b32 s2, s6, s2
	s_sub_i32 s6, s2, s0
	s_cmp_ge_u32 s2, s0
	s_cselect_b32 s0, s6, s2
	s_xor_b32 s0, s0, s3
	s_mul_i32 s23, s23, s12
	s_sub_i32 s47, s0, s3
	s_ashr_i32 s36, s9, 31
	s_ashr_i32 s37, s23, 31
	s_mul_hi_i32 s0, s47, s13
	s_mul_i32 s2, s47, s13
	s_ashr_i32 s13, s10, 31
	s_ashr_i32 s3, s1, 31
	s_load_dwordx8 s[24:31], s[4:5], 0x0
	s_load_dwordx2 s[34:35], s[4:5], 0x20
	s_add_u32 s2, s2, s1
	s_addc_u32 s0, s0, s3
	s_mul_hi_i32 s3, s10, s14
	s_mul_i32 s0, s33, s0
	s_mul_hi_u32 s6, s33, s2
	s_add_i32 s0, s6, s0
	s_mul_i32 s3, s3, s2
	s_add_i32 s0, s0, s3
	s_mul_i32 s2, s33, s2
	s_waitcnt lgkmcnt(0)
	s_add_u32 s38, s34, s2
	s_addc_u32 s39, s35, s0
	s_cmp_lt_i32 s21, 1
	s_mul_i32 s1, s1, s15
	s_cselect_b64 s[2:3], -1, 0
	s_sub_i32 s19, s1, s19
	s_cmp_gt_i32 s22, 0
	s_load_dword s45, s[4:5], 0xec
	s_cselect_b64 s[4:5], -1, 0
	s_cmp_gt_i32 s12, 0
	s_cselect_b64 s[6:7], -1, 0
	s_abs_i32 s43, s10
	v_cvt_f32_u32_e32 v1, s43
	s_abs_i32 s44, s11
	v_cvt_f32_u32_e32 v2, s44
	v_cmp_neq_f64_e64 s[0:1], s[28:29], 1.0
	v_rcp_iflag_f32_e32 v1, v1
	v_cmp_neq_f64_e64 s[34:35], s[30:31], 0
	v_rcp_iflag_f32_e32 v2, v2
	s_sub_i32 s46, 0, s43
	v_mul_f32_e32 v1, 0x4f7ffffe, v1
	v_cvt_u32_f32_e32 v1, v1
	v_mul_f32_e32 v2, 0x4f7ffffe, v2
	v_cvt_u32_f32_e32 v2, v2
	s_ashr_i32 s49, s21, 31
	v_mul_lo_u32 v3, s46, v1
	s_sub_i32 s46, 0, s44
	v_mul_lo_u32 v4, s46, v2
	v_cvt_i32_f64_e32 v14, s[28:29]
	v_mul_hi_u32 v3, v1, v3
	v_cvt_i32_f64_e32 v15, s[30:31]
	v_mul_hi_u32 v4, v2, v4
	s_mul_i32 s48, s22, s12
	s_or_b64 s[34:35], s[0:1], s[34:35]
	s_mul_i32 s0, s48, s49
	s_mul_hi_u32 s1, s48, s21
	s_mul_hi_i32 s49, s22, s12
	s_add_i32 s0, s1, s0
	s_mul_i32 s1, s49, s21
	s_ashr_i32 s40, s12, 31
	s_ashr_i32 s41, s11, 31
	s_mov_b32 s42, s11
	s_mov_b64 s[14:15], 0
	s_waitcnt lgkmcnt(0)
	s_and_b32 s45, s45, 0xffff
	v_add_u32_e32 v16, v1, v3
	v_add_u32_e32 v17, v2, v4
	s_mul_hi_i32 s46, s8, s47
	s_mul_i32 s47, s8, s47
	s_add_i32 s50, s0, s1
	s_mul_i32 s51, s48, s21
	s_branch .LBB18_3
.LBB18_2:                               ;   in Loop: Header=BB18_3 Depth=1
	v_add_u32_e32 v0, s45, v0
	v_cmp_le_i32_e32 vcc, s33, v0
	s_or_b64 s[14:15], vcc, s[14:15]
	global_store_byte v[1:2], v3, off
	s_andn2_b64 exec, exec, s[14:15]
	s_cbranch_execz .LBB18_18
.LBB18_3:                               ; =>This Loop Header: Depth=1
                                        ;     Child Loop BB18_8 Depth 2
                                        ;       Child Loop BB18_11 Depth 3
                                        ;         Child Loop BB18_14 Depth 4
	v_sub_u32_e32 v1, 0, v0
	v_max_i32_e32 v1, v0, v1
	v_mul_hi_u32 v2, v1, v16
	v_ashrrev_i32_e32 v4, 31, v0
	v_xor_b32_e32 v4, s13, v4
	s_mov_b64 s[0:1], -1
	v_mul_lo_u32 v3, v2, s43
	v_add_u32_e32 v5, 1, v2
	v_sub_u32_e32 v1, v1, v3
	v_cmp_le_u32_e32 vcc, s43, v1
	v_subrev_u32_e32 v3, s43, v1
	v_cndmask_b32_e32 v2, v2, v5, vcc
	v_cndmask_b32_e32 v1, v1, v3, vcc
	v_add_u32_e32 v3, 1, v2
	v_cmp_le_u32_e32 vcc, s43, v1
	v_cndmask_b32_e32 v1, v2, v3, vcc
	v_xor_b32_e32 v1, v1, v4
	v_sub_u32_e32 v18, v1, v4
	v_mul_lo_u32 v1, v18, s10
	v_sub_u32_e32 v4, v0, v1
	v_sub_u32_e32 v1, 0, v4
	v_max_i32_e32 v1, v4, v1
	v_mul_hi_u32 v2, v1, v17
	v_ashrrev_i32_e32 v5, 31, v4
	v_xor_b32_e32 v6, s41, v5
	v_mul_lo_u32 v3, v2, s44
	v_add_u32_e32 v7, 1, v2
	v_sub_u32_e32 v1, v1, v3
	v_cmp_le_u32_e32 vcc, s44, v1
	v_subrev_u32_e32 v3, s44, v1
	v_cndmask_b32_e32 v2, v2, v7, vcc
	v_cndmask_b32_e32 v1, v1, v3, vcc
	v_add_u32_e32 v3, 1, v2
	v_cmp_le_u32_e32 vcc, s44, v1
	v_cndmask_b32_e32 v1, v2, v3, vcc
	v_xor_b32_e32 v1, v1, v6
	v_sub_u32_e32 v6, v1, v6
	v_mul_lo_u32 v7, v6, s11
	s_andn2_b64 vcc, exec, s[2:3]
                                        ; implicit-def: $vgpr1_vgpr2
	v_sub_u32_e32 v19, v4, v7
	v_ashrrev_i32_e32 v20, 31, v19
	s_cbranch_vccnz .LBB18_5
; %bb.4:                                ;   in Loop: Header=BB18_3 Depth=1
	v_mad_i64_i32 v[1:2], s[0:1], v6, s42, 0
	s_mov_b64 s[0:1], 0
.LBB18_5:                               ;   in Loop: Header=BB18_3 Depth=1
	s_andn2_b64 vcc, exec, s[0:1]
	v_mov_b32_e32 v3, 0
	s_cbranch_vccnz .LBB18_16
; %bb.6:                                ;   in Loop: Header=BB18_3 Depth=1
	v_mul_lo_u32 v3, v18, s16
	v_mad_i64_i32 v[1:2], s[0:1], v6, s42, 0
	s_mov_b32 s52, 0
	v_subrev_u32_e32 v21, s20, v3
	v_add_co_u32_e32 v3, vcc, v1, v4
	v_addc_co_u32_e32 v4, vcc, v2, v5, vcc
	v_ashrrev_i32_e32 v5, 31, v7
	v_sub_co_u32_e32 v7, vcc, v3, v7
	v_subb_co_u32_e32 v3, vcc, v4, v5, vcc
	v_mul_lo_u32 v9, s51, v3
	v_mov_b32_e32 v3, s26
	v_mov_b32_e32 v4, s27
	v_mul_lo_u32 v10, s50, v7
	v_mad_u64_u32 v[4:5], s[0:1], s51, v7, v[3:4]
	v_mov_b32_e32 v7, s24
	v_mov_b32_e32 v8, s25
	v_mad_i64_i32 v[6:7], s[0:1], v6, s12, v[7:8]
	v_add3_u32 v5, v10, v5, v9
	v_mov_b32_e32 v3, 0
	s_mov_b32 s53, s19
	s_branch .LBB18_8
.LBB18_7:                               ;   in Loop: Header=BB18_8 Depth=2
	s_add_i32 s52, s52, 1
	s_add_i32 s53, s53, s17
	v_mov_b32_e32 v8, s49
	v_add_co_u32_e32 v4, vcc, s48, v4
	s_cmp_eq_u32 s52, s21
	v_addc_co_u32_e32 v5, vcc, v5, v8, vcc
	s_cbranch_scc1 .LBB18_16
.LBB18_8:                               ;   Parent Loop BB18_3 Depth=1
                                        ; =>  This Loop Header: Depth=2
                                        ;       Child Loop BB18_11 Depth 3
                                        ;         Child Loop BB18_14 Depth 4
	s_andn2_b64 vcc, exec, s[4:5]
	s_cbranch_vccnz .LBB18_7
; %bb.9:                                ;   in Loop: Header=BB18_8 Depth=2
	s_add_u32 s0, s47, s53
	s_addc_u32 s1, s46, 0
	s_mul_i32 s1, s9, s1
	s_mul_hi_u32 s28, s9, s0
	s_add_i32 s1, s28, s1
	s_mul_i32 s28, s36, s0
	s_mul_i32 s55, s9, s0
	;; [unrolled: 1-line block ×3, first 2 shown]
	s_add_i32 s54, s1, s28
	s_add_i32 s28, s0, s19
	s_cmp_lt_i32 s28, 0
	s_cselect_b64 s[0:1], -1, 0
	s_cmp_ge_i32 s28, s8
	s_cselect_b64 s[28:29], -1, 0
	v_mov_b32_e32 v9, v5
	s_mov_b32 s56, 0
	s_or_b64 s[28:29], s[0:1], s[28:29]
	v_mov_b32_e32 v8, v4
	v_mov_b32_e32 v22, v21
	s_branch .LBB18_11
.LBB18_10:                              ;   in Loop: Header=BB18_11 Depth=3
	s_add_i32 s56, s56, 1
	v_mov_b32_e32 v10, s40
	v_add_co_u32_e32 v8, vcc, s12, v8
	v_add_u32_e32 v22, s18, v22
	s_cmp_eq_u32 s56, s22
	v_addc_co_u32_e32 v9, vcc, v9, v10, vcc
	s_cbranch_scc1 .LBB18_7
.LBB18_11:                              ;   Parent Loop BB18_3 Depth=1
                                        ;     Parent Loop BB18_8 Depth=2
                                        ; =>    This Loop Header: Depth=3
                                        ;         Child Loop BB18_14 Depth 4
	s_andn2_b64 vcc, exec, s[6:7]
	s_cbranch_vccnz .LBB18_10
; %bb.12:                               ;   in Loop: Header=BB18_11 Depth=3
	v_mov_b32_e32 v10, s54
	v_add_co_u32_e32 v11, vcc, s55, v22
	v_addc_co_u32_e32 v10, vcc, 0, v10, vcc
	v_mul_lo_u32 v12, s23, v10
	v_mul_lo_u32 v13, s37, v11
	v_mad_u64_u32 v[10:11], s[0:1], s23, v11, v[6:7]
	s_mul_i32 s0, s56, s18
	s_mov_b32 s57, s12
	v_add3_u32 v11, v13, v11, v12
	v_add_u32_e32 v12, s0, v21
	v_cmp_gt_i32_e32 vcc, 0, v12
	v_cmp_le_i32_e64 s[0:1], s9, v12
	s_or_b64 s[0:1], vcc, s[0:1]
	v_mov_b32_e32 v13, v9
	s_nor_b64 s[0:1], s[28:29], s[0:1]
	v_mov_b32_e32 v12, v8
	s_branch .LBB18_14
.LBB18_13:                              ;   in Loop: Header=BB18_14 Depth=4
	s_or_b64 exec, exec, s[30:31]
	v_add_co_u32_e32 v10, vcc, 1, v10
	v_addc_co_u32_e32 v11, vcc, 0, v11, vcc
	s_add_i32 s57, s57, -1
	v_add_co_u32_e32 v12, vcc, 1, v12
	s_cmp_eq_u32 s57, 0
	v_addc_co_u32_e32 v13, vcc, 0, v13, vcc
	s_cbranch_scc1 .LBB18_10
.LBB18_14:                              ;   Parent Loop BB18_3 Depth=1
                                        ;     Parent Loop BB18_8 Depth=2
                                        ;       Parent Loop BB18_11 Depth=3
                                        ; =>      This Inner Loop Header: Depth=4
	s_and_saveexec_b64 s[30:31], s[0:1]
	s_cbranch_execz .LBB18_13
; %bb.15:                               ;   in Loop: Header=BB18_14 Depth=4
	global_load_ubyte v23, v[10:11], off
	global_load_ubyte v24, v[12:13], off
	s_waitcnt vmcnt(0)
	v_mad_u32_u24 v3, v24, v23, v3
	s_branch .LBB18_13
.LBB18_16:                              ;   in Loop: Header=BB18_3 Depth=1
	v_mov_b32_e32 v4, s39
	v_add_co_u32_e32 v1, vcc, s38, v1
	v_addc_co_u32_e32 v2, vcc, v4, v2, vcc
	v_mad_i64_i32 v[1:2], s[0:1], v18, s10, v[1:2]
	s_andn2_b64 vcc, exec, s[34:35]
	v_add_co_u32_e64 v1, s[0:1], v1, v19
	v_addc_co_u32_e64 v2, s[0:1], v2, v20, s[0:1]
	s_cbranch_vccnz .LBB18_2
; %bb.17:                               ;   in Loop: Header=BB18_3 Depth=1
	global_load_ubyte v4, v[1:2], off
	v_mul_lo_u32 v3, v3, v14
	s_waitcnt vmcnt(0)
	v_mad_u64_u32 v[3:4], s[0:1], v4, v15, v[3:4]
	s_branch .LBB18_2
.LBB18_18:
	s_endpgm
	.section	.rodata,"a",@progbits
	.p2align	6, 0x0
	.amdhsa_kernel naive_conv_ab_packed_fwd_nhwc_int8_t_int32_t_int8_t
		.amdhsa_group_segment_fixed_size 0
		.amdhsa_private_segment_fixed_size 0
		.amdhsa_kernarg_size 480
		.amdhsa_user_sgpr_count 6
		.amdhsa_user_sgpr_private_segment_buffer 1
		.amdhsa_user_sgpr_dispatch_ptr 0
		.amdhsa_user_sgpr_queue_ptr 0
		.amdhsa_user_sgpr_kernarg_segment_ptr 1
		.amdhsa_user_sgpr_dispatch_id 0
		.amdhsa_user_sgpr_flat_scratch_init 0
		.amdhsa_user_sgpr_private_segment_size 0
		.amdhsa_uses_dynamic_stack 0
		.amdhsa_system_sgpr_private_segment_wavefront_offset 0
		.amdhsa_system_sgpr_workgroup_id_x 1
		.amdhsa_system_sgpr_workgroup_id_y 0
		.amdhsa_system_sgpr_workgroup_id_z 0
		.amdhsa_system_sgpr_workgroup_info 0
		.amdhsa_system_vgpr_workitem_id 0
		.amdhsa_next_free_vgpr 25
		.amdhsa_next_free_sgpr 58
		.amdhsa_reserve_vcc 1
		.amdhsa_reserve_flat_scratch 0
		.amdhsa_float_round_mode_32 0
		.amdhsa_float_round_mode_16_64 0
		.amdhsa_float_denorm_mode_32 3
		.amdhsa_float_denorm_mode_16_64 3
		.amdhsa_dx10_clamp 1
		.amdhsa_ieee_mode 1
		.amdhsa_fp16_overflow 0
		.amdhsa_exception_fp_ieee_invalid_op 0
		.amdhsa_exception_fp_denorm_src 0
		.amdhsa_exception_fp_ieee_div_zero 0
		.amdhsa_exception_fp_ieee_overflow 0
		.amdhsa_exception_fp_ieee_underflow 0
		.amdhsa_exception_fp_ieee_inexact 0
		.amdhsa_exception_int_div_zero 0
	.end_amdhsa_kernel
	.text
.Lfunc_end18:
	.size	naive_conv_ab_packed_fwd_nhwc_int8_t_int32_t_int8_t, .Lfunc_end18-naive_conv_ab_packed_fwd_nhwc_int8_t_int32_t_int8_t
                                        ; -- End function
	.set naive_conv_ab_packed_fwd_nhwc_int8_t_int32_t_int8_t.num_vgpr, 25
	.set naive_conv_ab_packed_fwd_nhwc_int8_t_int32_t_int8_t.num_agpr, 0
	.set naive_conv_ab_packed_fwd_nhwc_int8_t_int32_t_int8_t.numbered_sgpr, 58
	.set naive_conv_ab_packed_fwd_nhwc_int8_t_int32_t_int8_t.num_named_barrier, 0
	.set naive_conv_ab_packed_fwd_nhwc_int8_t_int32_t_int8_t.private_seg_size, 0
	.set naive_conv_ab_packed_fwd_nhwc_int8_t_int32_t_int8_t.uses_vcc, 1
	.set naive_conv_ab_packed_fwd_nhwc_int8_t_int32_t_int8_t.uses_flat_scratch, 0
	.set naive_conv_ab_packed_fwd_nhwc_int8_t_int32_t_int8_t.has_dyn_sized_stack, 0
	.set naive_conv_ab_packed_fwd_nhwc_int8_t_int32_t_int8_t.has_recursion, 0
	.set naive_conv_ab_packed_fwd_nhwc_int8_t_int32_t_int8_t.has_indirect_call, 0
	.section	.AMDGPU.csdata,"",@progbits
; Kernel info:
; codeLenInByte = 1324
; TotalNumSgprs: 62
; NumVgprs: 25
; ScratchSize: 0
; MemoryBound: 0
; FloatMode: 240
; IeeeMode: 1
; LDSByteSize: 0 bytes/workgroup (compile time only)
; SGPRBlocks: 7
; VGPRBlocks: 6
; NumSGPRsForWavesPerEU: 62
; NumVGPRsForWavesPerEU: 25
; Occupancy: 9
; WaveLimiterHint : 0
; COMPUTE_PGM_RSRC2:SCRATCH_EN: 0
; COMPUTE_PGM_RSRC2:USER_SGPR: 6
; COMPUTE_PGM_RSRC2:TRAP_HANDLER: 0
; COMPUTE_PGM_RSRC2:TGID_X_EN: 1
; COMPUTE_PGM_RSRC2:TGID_Y_EN: 0
; COMPUTE_PGM_RSRC2:TGID_Z_EN: 0
; COMPUTE_PGM_RSRC2:TIDIG_COMP_CNT: 0
	.text
	.protected	naive_conv_ab_nonpacked_fwd_nhwc_int8_t_int32_t_int8_t ; -- Begin function naive_conv_ab_nonpacked_fwd_nhwc_int8_t_int32_t_int8_t
	.globl	naive_conv_ab_nonpacked_fwd_nhwc_int8_t_int32_t_int8_t
	.p2align	8
	.type	naive_conv_ab_nonpacked_fwd_nhwc_int8_t_int32_t_int8_t,@function
naive_conv_ab_nonpacked_fwd_nhwc_int8_t_int32_t_int8_t: ; @naive_conv_ab_nonpacked_fwd_nhwc_int8_t_int32_t_int8_t
; %bb.0:
	s_load_dwordx16 s[8:23], s[4:5], 0xa0
	s_abs_i32 s1, s6
	s_waitcnt lgkmcnt(0)
	s_abs_i32 s0, s13
	v_cvt_f32_u32_e32 v1, s0
	s_sub_i32 s2, 0, s0
	v_rcp_iflag_f32_e32 v1, v1
	v_mul_f32_e32 v1, 0x4f7ffffe, v1
	v_cvt_u32_f32_e32 v1, v1
	v_readfirstlane_b32 s3, v1
	s_mul_i32 s2, s2, s3
	s_mul_hi_u32 s2, s3, s2
	s_add_i32 s3, s3, s2
	s_mul_hi_u32 s2, s1, s3
	s_mul_i32 s3, s2, s0
	s_sub_i32 s1, s1, s3
	s_add_i32 s7, s2, 1
	s_sub_i32 s3, s1, s0
	s_cmp_ge_u32 s1, s0
	s_cselect_b32 s2, s7, s2
	s_cselect_b32 s1, s3, s1
	s_add_i32 s3, s2, 1
	s_cmp_ge_u32 s1, s0
	s_cselect_b32 s1, s3, s2
	s_abs_i32 s0, s10
	v_cvt_f32_u32_e32 v1, s0
	s_mul_i32 s10, s23, s11
	s_mul_i32 s23, s10, s14
	v_cmp_gt_i32_e32 vcc, s23, v0
	v_rcp_iflag_f32_e32 v1, v1
	v_mul_f32_e32 v1, 0x4f7ffffe, v1
	v_cvt_u32_f32_e32 v1, v1
	v_readfirstlane_b32 s2, v1
	s_and_saveexec_b64 s[24:25], vcc
	s_cbranch_execz .LBB19_18
; %bb.1:
	s_xor_b32 s3, s6, s13
	s_ashr_i32 s3, s3, 31
	s_xor_b32 s1, s1, s3
	s_sub_i32 s1, s1, s3
	s_sub_i32 s3, 0, s0
	s_mul_i32 s3, s3, s2
	s_mul_hi_u32 s3, s2, s3
	s_abs_i32 s14, s1
	s_add_i32 s2, s2, s3
	s_mul_hi_u32 s33, s14, s2
	s_ashr_i32 s7, s1, 31
	s_mul_i32 s1, s1, s13
	s_mul_i32 s33, s33, s0
	s_sub_i32 s13, s6, s1
	s_sub_i32 s1, s14, s33
	;; [unrolled: 1-line block ×3, first 2 shown]
	s_cmp_ge_u32 s1, s0
	s_cselect_b32 s1, s6, s1
	s_sub_i32 s6, s1, s0
	s_cmp_ge_u32 s1, s0
	s_cselect_b32 s0, s6, s1
	s_load_dwordx8 s[24:31], s[4:5], 0x0
	s_load_dwordx2 s[34:35], s[4:5], 0x20
	s_load_dwordx16 s[36:51], s[4:5], 0x28
	s_load_dwordx2 s[2:3], s[4:5], 0x98
	s_load_dwordx4 s[60:63], s[4:5], 0x88
	s_xor_b32 s0, s0, s7
	s_sub_i32 s54, s0, s7
	s_ashr_i32 s0, s54, 31
	s_waitcnt lgkmcnt(0)
	s_mul_i32 s1, s44, s0
	s_mul_hi_u32 s6, s44, s54
	s_add_i32 s1, s6, s1
	s_mul_i32 s6, s45, s54
	s_add_i32 s55, s1, s6
	s_mul_i32 s0, s2, s0
	s_mul_hi_u32 s1, s2, s54
	s_add_i32 s0, s1, s0
	s_mul_i32 s1, s3, s54
	s_add_i32 s0, s0, s1
	s_mul_i32 s1, s2, s54
	s_ashr_i32 s2, s13, 31
	s_mul_i32 s2, s62, s2
	s_mul_hi_u32 s3, s62, s13
	s_add_i32 s2, s3, s2
	s_mul_i32 s3, s63, s13
	s_add_i32 s3, s2, s3
	s_add_u32 s1, s34, s1
	s_mul_i32 s2, s62, s13
	s_addc_u32 s0, s35, s0
	s_add_u32 s2, s1, s2
	s_addc_u32 s3, s0, s3
	s_cmp_lt_i32 s21, 1
	s_mul_i32 s13, s13, s15
	s_cselect_b64 s[6:7], -1, 0
	s_sub_i32 s13, s13, s19
	s_cmp_gt_i32 s22, 0
	s_cselect_b64 s[14:15], -1, 0
	s_cmp_gt_i32 s12, 0
	s_cselect_b64 s[34:35], -1, 0
	s_abs_i32 s19, s10
	v_cvt_f32_u32_e32 v1, s19
	s_abs_i32 s33, s11
	v_cvt_f32_u32_e32 v3, s33
	v_cmp_neq_f64_e64 s[0:1], s[28:29], 1.0
	v_cmp_neq_f64_e64 s[52:53], s[30:31], 0
	v_rcp_iflag_f32_e32 v1, v1
	v_rcp_iflag_f32_e32 v3, v3
	s_ashr_i32 s45, s10, 31
	s_ashr_i32 s64, s11, 31
	v_mul_f32_e32 v1, 0x4f7ffffe, v1
	v_cvt_u32_f32_e32 v1, v1
	v_mul_f32_e32 v3, 0x4f7ffffe, v3
	v_cvt_u32_f32_e32 v3, v3
	s_or_b64 s[62:63], s[0:1], s[52:53]
	s_load_dword s1, s[4:5], 0xec
	s_sub_i32 s0, 0, s19
	v_mul_lo_u32 v2, s0, v1
	s_sub_i32 s0, 0, s33
	v_mul_lo_u32 v4, s0, v3
	s_mul_i32 s0, s44, s54
	s_waitcnt lgkmcnt(0)
	s_and_b32 s44, s1, 0xffff
	s_add_u32 s24, s24, s0
	s_addc_u32 s25, s25, s55
	v_mul_hi_u32 v2, v1, v2
	v_mul_hi_u32 v4, v3, v4
	s_load_dwordx8 s[52:59], s[4:5], 0x68
	v_cvt_i32_f64_e32 v14, s[28:29]
	v_cvt_i32_f64_e32 v15, s[30:31]
	v_add_u32_e32 v16, v1, v2
	v_add_u32_e32 v17, v3, v4
	s_mov_b64 s[28:29], 0
	s_branch .LBB19_3
.LBB19_2:                               ;   in Loop: Header=BB19_3 Depth=1
	v_add_u32_e32 v0, s44, v0
	v_cmp_le_i32_e32 vcc, s23, v0
	s_or_b64 s[28:29], vcc, s[28:29]
	global_store_byte v[3:4], v1, off
	s_andn2_b64 exec, exec, s[28:29]
	s_cbranch_execz .LBB19_18
.LBB19_3:                               ; =>This Loop Header: Depth=1
                                        ;     Child Loop BB19_8 Depth 2
                                        ;       Child Loop BB19_11 Depth 3
                                        ;         Child Loop BB19_14 Depth 4
	v_sub_u32_e32 v1, 0, v0
	v_max_i32_e32 v1, v0, v1
	v_mul_hi_u32 v2, v1, v16
	v_ashrrev_i32_e32 v4, 31, v0
	v_xor_b32_e32 v4, s45, v4
	s_mov_b64 s[0:1], -1
	v_mul_lo_u32 v3, v2, s19
	v_add_u32_e32 v5, 1, v2
	v_sub_u32_e32 v1, v1, v3
	v_cmp_le_u32_e32 vcc, s19, v1
	v_subrev_u32_e32 v3, s19, v1
	v_cndmask_b32_e32 v2, v2, v5, vcc
	v_cndmask_b32_e32 v1, v1, v3, vcc
	v_add_u32_e32 v3, 1, v2
	v_cmp_le_u32_e32 vcc, s19, v1
	v_cndmask_b32_e32 v1, v2, v3, vcc
	v_xor_b32_e32 v1, v1, v4
	v_sub_u32_e32 v18, v1, v4
	v_mul_lo_u32 v1, v18, s10
	v_sub_u32_e32 v2, v0, v1
	v_sub_u32_e32 v1, 0, v2
	v_max_i32_e32 v1, v2, v1
	v_mul_hi_u32 v4, v1, v17
	v_ashrrev_i32_e32 v3, 31, v2
	v_xor_b32_e32 v6, s64, v3
	v_mul_lo_u32 v5, v4, s33
	v_add_u32_e32 v7, 1, v4
	v_sub_u32_e32 v1, v1, v5
	v_cmp_le_u32_e32 vcc, s33, v1
	v_subrev_u32_e32 v5, s33, v1
	v_cndmask_b32_e32 v4, v4, v7, vcc
	v_cndmask_b32_e32 v1, v1, v5, vcc
	v_add_u32_e32 v5, 1, v4
	v_cmp_le_u32_e32 vcc, s33, v1
	v_cndmask_b32_e32 v1, v4, v5, vcc
	v_xor_b32_e32 v1, v1, v6
	v_sub_u32_e32 v21, v1, v6
	v_mul_lo_u32 v4, v21, s11
	s_andn2_b64 vcc, exec, s[6:7]
	v_ashrrev_i32_e32 v22, 31, v21
	v_sub_u32_e32 v19, v2, v4
	v_ashrrev_i32_e32 v20, 31, v19
	s_cbranch_vccnz .LBB19_5
; %bb.4:                                ;   in Loop: Header=BB19_3 Depth=1
	s_mov_b64 s[0:1], 0
.LBB19_5:                               ;   in Loop: Header=BB19_3 Depth=1
	s_andn2_b64 vcc, exec, s[0:1]
	v_mov_b32_e32 v1, 0
	s_cbranch_vccnz .LBB19_16
; %bb.6:                                ;   in Loop: Header=BB19_3 Depth=1
	s_waitcnt lgkmcnt(0)
	v_mul_lo_u32 v1, s55, v21
	v_mul_lo_u32 v7, s54, v22
	v_mad_u64_u32 v[5:6], s[0:1], s54, v21, 0
	v_mul_lo_u32 v8, v18, s16
	s_mov_b32 s65, 0
	v_add3_u32 v6, v6, v7, v1
	v_ashrrev_i32_e32 v1, 31, v4
	v_sub_co_u32_e32 v4, vcc, v2, v4
	v_subb_co_u32_e32 v3, vcc, v3, v1, vcc
	v_mad_u64_u32 v[1:2], s[0:1], s52, v4, v[5:6]
	v_mul_lo_u32 v3, s52, v3
	v_mul_lo_u32 v4, s53, v4
	v_subrev_u32_e32 v23, s20, v8
	v_mul_lo_u32 v7, s39, v21
	v_mul_lo_u32 v8, s38, v22
	v_add3_u32 v5, v4, v2, v3
	v_mov_b32_e32 v2, s24
	v_mov_b32_e32 v3, s25
	v_mad_u64_u32 v[2:3], s[0:1], s38, v21, v[2:3]
	v_mov_b32_e32 v6, s27
	v_add_co_u32_e32 v4, vcc, s26, v1
	v_addc_co_u32_e32 v5, vcc, v6, v5, vcc
	v_add3_u32 v3, v7, v3, v8
	v_mov_b32_e32 v1, 0
	s_mov_b32 s66, s13
	s_branch .LBB19_8
.LBB19_7:                               ;   in Loop: Header=BB19_8 Depth=2
	s_add_i32 s65, s65, 1
	v_mov_b32_e32 v6, s51
	s_add_i32 s66, s66, s17
	v_add_co_u32_e32 v4, vcc, s50, v4
	s_cmp_eq_u32 s65, s21
	v_addc_co_u32_e32 v5, vcc, v5, v6, vcc
	s_cbranch_scc1 .LBB19_16
.LBB19_8:                               ;   Parent Loop BB19_3 Depth=1
                                        ; =>  This Loop Header: Depth=2
                                        ;       Child Loop BB19_11 Depth 3
                                        ;         Child Loop BB19_14 Depth 4
	s_andn2_b64 vcc, exec, s[14:15]
	s_cbranch_vccnz .LBB19_7
; %bb.9:                                ;   in Loop: Header=BB19_8 Depth=2
	s_mul_i32 s0, s65, s17
	s_add_i32 s4, s0, s13
	s_cmp_lt_i32 s4, 0
	v_mov_b32_e32 v6, s66
	s_cselect_b64 s[0:1], -1, 0
	s_cmp_ge_i32 s4, s8
	v_mad_u64_u32 v[6:7], s[4:5], s42, v6, v[2:3]
	s_cselect_b64 s[4:5], -1, 0
	s_or_b64 s[4:5], s[0:1], s[4:5]
	s_mul_i32 s0, s43, s66
	v_mov_b32_e32 v9, v5
	s_mov_b32 s67, 0
	v_add_u32_e32 v7, s0, v7
	v_mov_b32_e32 v24, v23
	v_mov_b32_e32 v8, v4
	s_branch .LBB19_11
.LBB19_10:                              ;   in Loop: Header=BB19_11 Depth=3
	s_add_i32 s67, s67, 1
	v_mov_b32_e32 v10, s49
	v_add_co_u32_e32 v8, vcc, s48, v8
	v_addc_co_u32_e32 v9, vcc, v9, v10, vcc
	s_cmp_eq_u32 s67, s22
	v_add_u32_e32 v24, s18, v24
	s_cbranch_scc1 .LBB19_7
.LBB19_11:                              ;   Parent Loop BB19_3 Depth=1
                                        ;     Parent Loop BB19_8 Depth=2
                                        ; =>    This Loop Header: Depth=3
                                        ;         Child Loop BB19_14 Depth 4
	s_andn2_b64 vcc, exec, s[34:35]
	s_cbranch_vccnz .LBB19_10
; %bb.12:                               ;   in Loop: Header=BB19_11 Depth=3
	v_mad_u64_u32 v[10:11], s[0:1], s40, v24, v[6:7]
	s_mul_i32 s30, s67, s18
	s_mov_b32 s68, s12
	v_mad_u64_u32 v[11:12], s[0:1], s41, v24, v[11:12]
	v_add_u32_e32 v12, s30, v23
	v_cmp_gt_i32_e32 vcc, 0, v12
	v_cmp_le_i32_e64 s[0:1], s9, v12
	s_or_b64 s[0:1], vcc, s[0:1]
	v_mov_b32_e32 v13, v9
	s_nor_b64 s[0:1], s[4:5], s[0:1]
	v_mov_b32_e32 v12, v8
	s_branch .LBB19_14
.LBB19_13:                              ;   in Loop: Header=BB19_14 Depth=4
	s_or_b64 exec, exec, s[30:31]
	v_mov_b32_e32 v25, s47
	v_add_co_u32_e32 v12, vcc, s46, v12
	v_addc_co_u32_e32 v13, vcc, v13, v25, vcc
	s_add_i32 s68, s68, -1
	v_mov_b32_e32 v25, s37
	v_add_co_u32_e32 v10, vcc, s36, v10
	s_cmp_eq_u32 s68, 0
	v_addc_co_u32_e32 v11, vcc, v11, v25, vcc
	s_cbranch_scc1 .LBB19_10
.LBB19_14:                              ;   Parent Loop BB19_3 Depth=1
                                        ;     Parent Loop BB19_8 Depth=2
                                        ;       Parent Loop BB19_11 Depth=3
                                        ; =>      This Inner Loop Header: Depth=4
	s_and_saveexec_b64 s[30:31], s[0:1]
	s_cbranch_execz .LBB19_13
; %bb.15:                               ;   in Loop: Header=BB19_14 Depth=4
	global_load_ubyte v25, v[10:11], off
	global_load_ubyte v26, v[12:13], off
	s_waitcnt vmcnt(0)
	v_mad_u32_u24 v1, v26, v25, v1
	s_branch .LBB19_13
.LBB19_16:                              ;   in Loop: Header=BB19_3 Depth=1
	v_mov_b32_e32 v2, s2
	v_mov_b32_e32 v3, s3
	s_waitcnt lgkmcnt(0)
	v_mad_u64_u32 v[2:3], s[0:1], v21, s58, v[2:3]
	v_mul_lo_u32 v4, v21, s59
	v_mul_lo_u32 v5, v22, s58
	v_ashrrev_i32_e32 v6, 31, v18
	s_andn2_b64 vcc, exec, s[62:63]
	v_add3_u32 v3, v5, v3, v4
	v_mad_u64_u32 v[2:3], s[0:1], s60, v18, v[2:3]
	v_mul_lo_u32 v4, s61, v18
	v_mul_lo_u32 v5, s60, v6
	v_add3_u32 v3, v4, v3, v5
	v_mad_u64_u32 v[3:4], s[0:1], v19, s56, v[2:3]
	v_mul_lo_u32 v2, v19, s57
	v_mul_lo_u32 v5, v20, s56
	v_add3_u32 v4, v5, v4, v2
	s_cbranch_vccnz .LBB19_2
; %bb.17:                               ;   in Loop: Header=BB19_3 Depth=1
	global_load_ubyte v2, v[3:4], off
	v_mul_lo_u32 v1, v1, v14
	s_waitcnt vmcnt(0)
	v_mad_u64_u32 v[1:2], s[0:1], v2, v15, v[1:2]
	s_branch .LBB19_2
.LBB19_18:
	s_endpgm
	.section	.rodata,"a",@progbits
	.p2align	6, 0x0
	.amdhsa_kernel naive_conv_ab_nonpacked_fwd_nhwc_int8_t_int32_t_int8_t
		.amdhsa_group_segment_fixed_size 0
		.amdhsa_private_segment_fixed_size 0
		.amdhsa_kernarg_size 480
		.amdhsa_user_sgpr_count 6
		.amdhsa_user_sgpr_private_segment_buffer 1
		.amdhsa_user_sgpr_dispatch_ptr 0
		.amdhsa_user_sgpr_queue_ptr 0
		.amdhsa_user_sgpr_kernarg_segment_ptr 1
		.amdhsa_user_sgpr_dispatch_id 0
		.amdhsa_user_sgpr_flat_scratch_init 0
		.amdhsa_user_sgpr_private_segment_size 0
		.amdhsa_uses_dynamic_stack 0
		.amdhsa_system_sgpr_private_segment_wavefront_offset 0
		.amdhsa_system_sgpr_workgroup_id_x 1
		.amdhsa_system_sgpr_workgroup_id_y 0
		.amdhsa_system_sgpr_workgroup_id_z 0
		.amdhsa_system_sgpr_workgroup_info 0
		.amdhsa_system_vgpr_workitem_id 0
		.amdhsa_next_free_vgpr 27
		.amdhsa_next_free_sgpr 69
		.amdhsa_reserve_vcc 1
		.amdhsa_reserve_flat_scratch 0
		.amdhsa_float_round_mode_32 0
		.amdhsa_float_round_mode_16_64 0
		.amdhsa_float_denorm_mode_32 3
		.amdhsa_float_denorm_mode_16_64 3
		.amdhsa_dx10_clamp 1
		.amdhsa_ieee_mode 1
		.amdhsa_fp16_overflow 0
		.amdhsa_exception_fp_ieee_invalid_op 0
		.amdhsa_exception_fp_denorm_src 0
		.amdhsa_exception_fp_ieee_div_zero 0
		.amdhsa_exception_fp_ieee_overflow 0
		.amdhsa_exception_fp_ieee_underflow 0
		.amdhsa_exception_fp_ieee_inexact 0
		.amdhsa_exception_int_div_zero 0
	.end_amdhsa_kernel
	.text
.Lfunc_end19:
	.size	naive_conv_ab_nonpacked_fwd_nhwc_int8_t_int32_t_int8_t, .Lfunc_end19-naive_conv_ab_nonpacked_fwd_nhwc_int8_t_int32_t_int8_t
                                        ; -- End function
	.set naive_conv_ab_nonpacked_fwd_nhwc_int8_t_int32_t_int8_t.num_vgpr, 27
	.set naive_conv_ab_nonpacked_fwd_nhwc_int8_t_int32_t_int8_t.num_agpr, 0
	.set naive_conv_ab_nonpacked_fwd_nhwc_int8_t_int32_t_int8_t.numbered_sgpr, 69
	.set naive_conv_ab_nonpacked_fwd_nhwc_int8_t_int32_t_int8_t.num_named_barrier, 0
	.set naive_conv_ab_nonpacked_fwd_nhwc_int8_t_int32_t_int8_t.private_seg_size, 0
	.set naive_conv_ab_nonpacked_fwd_nhwc_int8_t_int32_t_int8_t.uses_vcc, 1
	.set naive_conv_ab_nonpacked_fwd_nhwc_int8_t_int32_t_int8_t.uses_flat_scratch, 0
	.set naive_conv_ab_nonpacked_fwd_nhwc_int8_t_int32_t_int8_t.has_dyn_sized_stack, 0
	.set naive_conv_ab_nonpacked_fwd_nhwc_int8_t_int32_t_int8_t.has_recursion, 0
	.set naive_conv_ab_nonpacked_fwd_nhwc_int8_t_int32_t_int8_t.has_indirect_call, 0
	.section	.AMDGPU.csdata,"",@progbits
; Kernel info:
; codeLenInByte = 1428
; TotalNumSgprs: 73
; NumVgprs: 27
; ScratchSize: 0
; MemoryBound: 0
; FloatMode: 240
; IeeeMode: 1
; LDSByteSize: 0 bytes/workgroup (compile time only)
; SGPRBlocks: 9
; VGPRBlocks: 6
; NumSGPRsForWavesPerEU: 73
; NumVGPRsForWavesPerEU: 27
; Occupancy: 9
; WaveLimiterHint : 0
; COMPUTE_PGM_RSRC2:SCRATCH_EN: 0
; COMPUTE_PGM_RSRC2:USER_SGPR: 6
; COMPUTE_PGM_RSRC2:TRAP_HANDLER: 0
; COMPUTE_PGM_RSRC2:TGID_X_EN: 1
; COMPUTE_PGM_RSRC2:TGID_Y_EN: 0
; COMPUTE_PGM_RSRC2:TGID_Z_EN: 0
; COMPUTE_PGM_RSRC2:TIDIG_COMP_CNT: 0
	.text
	.protected	naive_conv_ab_packed_fwd_nhwc_int8_t_int32_t_int32_t ; -- Begin function naive_conv_ab_packed_fwd_nhwc_int8_t_int32_t_int32_t
	.globl	naive_conv_ab_packed_fwd_nhwc_int8_t_int32_t_int32_t
	.p2align	8
	.type	naive_conv_ab_packed_fwd_nhwc_int8_t_int32_t_int32_t,@function
naive_conv_ab_packed_fwd_nhwc_int8_t_int32_t_int32_t: ; @naive_conv_ab_packed_fwd_nhwc_int8_t_int32_t_int32_t
; %bb.0:
	s_load_dwordx16 s[8:23], s[4:5], 0xa0
	s_abs_i32 s1, s6
	s_waitcnt lgkmcnt(0)
	s_abs_i32 s0, s13
	v_cvt_f32_u32_e32 v1, s0
	s_sub_i32 s2, 0, s0
	v_rcp_iflag_f32_e32 v1, v1
	v_mul_f32_e32 v1, 0x4f7ffffe, v1
	v_cvt_u32_f32_e32 v1, v1
	v_readfirstlane_b32 s3, v1
	s_mul_i32 s2, s2, s3
	s_mul_hi_u32 s2, s3, s2
	s_add_i32 s3, s3, s2
	s_mul_hi_u32 s2, s1, s3
	s_mul_i32 s3, s2, s0
	s_sub_i32 s1, s1, s3
	s_add_i32 s7, s2, 1
	s_sub_i32 s3, s1, s0
	s_cmp_ge_u32 s1, s0
	s_cselect_b32 s2, s7, s2
	s_cselect_b32 s1, s3, s1
	s_add_i32 s3, s2, 1
	s_cmp_ge_u32 s1, s0
	s_cselect_b32 s1, s3, s2
	s_abs_i32 s0, s10
	v_cvt_f32_u32_e32 v1, s0
	s_mul_i32 s10, s23, s11
	s_mul_i32 s33, s10, s14
	v_cmp_gt_i32_e32 vcc, s33, v0
	v_rcp_iflag_f32_e32 v1, v1
	v_mul_f32_e32 v1, 0x4f7ffffe, v1
	v_cvt_u32_f32_e32 v1, v1
	v_readfirstlane_b32 s2, v1
	s_and_saveexec_b64 s[24:25], vcc
	s_cbranch_execz .LBB20_20
; %bb.1:
	s_xor_b32 s3, s6, s13
	s_ashr_i32 s3, s3, 31
	s_sub_i32 s36, 0, s0
	s_xor_b32 s1, s1, s3
	s_mul_i32 s36, s36, s2
	s_sub_i32 s1, s1, s3
	s_mul_hi_u32 s36, s2, s36
	s_abs_i32 s7, s1
	s_add_i32 s2, s2, s36
	s_mul_hi_u32 s2, s7, s2
	s_ashr_i32 s3, s1, 31
	s_mul_i32 s1, s1, s13
	s_mul_i32 s2, s2, s0
	s_sub_i32 s6, s6, s1
	s_sub_i32 s1, s7, s2
	;; [unrolled: 1-line block ×3, first 2 shown]
	s_cmp_ge_u32 s1, s0
	s_cselect_b32 s1, s2, s1
	s_sub_i32 s2, s1, s0
	s_cmp_ge_u32 s1, s0
	s_cselect_b32 s0, s2, s1
	s_xor_b32 s0, s0, s3
	s_mul_i32 s23, s23, s12
	s_sub_i32 s47, s0, s3
	s_ashr_i32 s36, s9, 31
	s_ashr_i32 s37, s23, 31
	s_mul_hi_i32 s0, s47, s13
	s_mul_i32 s1, s47, s13
	s_ashr_i32 s13, s10, 31
	s_ashr_i32 s2, s6, 31
	s_add_u32 s3, s1, s6
	s_load_dwordx8 s[24:31], s[4:5], 0x0
	s_load_dwordx2 s[34:35], s[4:5], 0x20
	s_addc_u32 s0, s0, s2
	s_mul_hi_i32 s1, s10, s14
	s_mul_i32 s0, s33, s0
	s_mul_hi_u32 s2, s33, s3
	s_add_i32 s0, s2, s0
	s_mul_i32 s1, s1, s3
	s_add_i32 s1, s0, s1
	s_mul_i32 s0, s33, s3
	s_lshl_b64 s[0:1], s[0:1], 2
	s_waitcnt lgkmcnt(0)
	s_add_u32 s38, s34, s0
	s_addc_u32 s39, s35, s1
	s_cmp_lt_i32 s21, 1
	s_mul_i32 s6, s6, s15
	s_cselect_b64 s[2:3], -1, 0
	s_sub_i32 s19, s6, s19
	s_cmp_gt_i32 s22, 0
	s_load_dword s45, s[4:5], 0xec
	s_cselect_b64 s[4:5], -1, 0
	s_cmp_gt_i32 s12, 0
	s_cselect_b64 s[6:7], -1, 0
	s_abs_i32 s43, s10
	v_cvt_f32_u32_e32 v1, s43
	s_abs_i32 s44, s11
	v_cvt_f32_u32_e32 v2, s44
	v_cmp_neq_f64_e64 s[0:1], s[28:29], 1.0
	v_rcp_iflag_f32_e32 v1, v1
	v_cmp_neq_f64_e64 s[34:35], s[30:31], 0
	v_rcp_iflag_f32_e32 v2, v2
	s_sub_i32 s46, 0, s43
	v_mul_f32_e32 v1, 0x4f7ffffe, v1
	v_cvt_u32_f32_e32 v1, v1
	v_mul_f32_e32 v2, 0x4f7ffffe, v2
	v_cvt_u32_f32_e32 v2, v2
	s_ashr_i32 s49, s21, 31
	v_mul_lo_u32 v3, s46, v1
	s_sub_i32 s46, 0, s44
	v_mul_lo_u32 v4, s46, v2
	v_cvt_i32_f64_e32 v15, s[28:29]
	v_mul_hi_u32 v3, v1, v3
	v_cvt_i32_f64_e32 v16, s[30:31]
	v_mul_hi_u32 v4, v2, v4
	s_mul_i32 s48, s22, s12
	s_or_b64 s[34:35], s[0:1], s[34:35]
	s_mul_i32 s0, s48, s49
	s_mul_hi_u32 s1, s48, s21
	s_mul_hi_i32 s49, s22, s12
	s_add_i32 s0, s1, s0
	s_mul_i32 s1, s49, s21
	s_ashr_i32 s40, s12, 31
	s_ashr_i32 s41, s11, 31
	s_mov_b32 s42, s11
	s_mov_b64 s[14:15], 0
	s_waitcnt lgkmcnt(0)
	s_and_b32 s45, s45, 0xffff
	v_add_u32_e32 v17, v1, v3
	v_add_u32_e32 v18, v2, v4
	s_mul_hi_i32 s46, s8, s47
	s_mul_i32 s47, s8, s47
	s_add_i32 s50, s0, s1
	s_mul_i32 s51, s48, s21
	s_branch .LBB20_3
.LBB20_2:                               ;   in Loop: Header=BB20_3 Depth=1
	v_add_u32_e32 v0, s45, v0
	v_cmp_le_i32_e32 vcc, s33, v0
	s_or_b64 s[14:15], vcc, s[14:15]
	s_andn2_b64 exec, exec, s[14:15]
	s_cbranch_execz .LBB20_20
.LBB20_3:                               ; =>This Loop Header: Depth=1
                                        ;     Child Loop BB20_8 Depth 2
                                        ;       Child Loop BB20_11 Depth 3
                                        ;         Child Loop BB20_14 Depth 4
	v_sub_u32_e32 v1, 0, v0
	v_max_i32_e32 v1, v0, v1
	v_mul_hi_u32 v2, v1, v17
	v_ashrrev_i32_e32 v4, 31, v0
	v_xor_b32_e32 v4, s13, v4
	s_mov_b64 s[0:1], -1
	v_mul_lo_u32 v3, v2, s43
	v_add_u32_e32 v5, 1, v2
	v_sub_u32_e32 v1, v1, v3
	v_cmp_le_u32_e32 vcc, s43, v1
	v_subrev_u32_e32 v3, s43, v1
	v_cndmask_b32_e32 v2, v2, v5, vcc
	v_cndmask_b32_e32 v1, v1, v3, vcc
	v_add_u32_e32 v3, 1, v2
	v_cmp_le_u32_e32 vcc, s43, v1
	v_cndmask_b32_e32 v1, v2, v3, vcc
	v_xor_b32_e32 v1, v1, v4
	v_sub_u32_e32 v19, v1, v4
	v_mul_lo_u32 v1, v19, s10
	v_sub_u32_e32 v5, v0, v1
	v_sub_u32_e32 v1, 0, v5
	v_max_i32_e32 v1, v5, v1
	v_mul_hi_u32 v2, v1, v18
	v_ashrrev_i32_e32 v6, 31, v5
	v_xor_b32_e32 v4, s41, v6
	v_mul_lo_u32 v3, v2, s44
	v_add_u32_e32 v7, 1, v2
	v_sub_u32_e32 v1, v1, v3
	v_cmp_le_u32_e32 vcc, s44, v1
	v_subrev_u32_e32 v3, s44, v1
	v_cndmask_b32_e32 v2, v2, v7, vcc
	v_cndmask_b32_e32 v1, v1, v3, vcc
	v_add_u32_e32 v3, 1, v2
	v_cmp_le_u32_e32 vcc, s44, v1
	v_cndmask_b32_e32 v1, v2, v3, vcc
	v_xor_b32_e32 v1, v1, v4
	v_sub_u32_e32 v7, v1, v4
	v_mul_lo_u32 v8, v7, s11
	s_andn2_b64 vcc, exec, s[2:3]
                                        ; implicit-def: $vgpr3_vgpr4
	v_sub_u32_e32 v1, v5, v8
	v_ashrrev_i32_e32 v2, 31, v1
	s_cbranch_vccnz .LBB20_5
; %bb.4:                                ;   in Loop: Header=BB20_3 Depth=1
	v_mad_i64_i32 v[3:4], s[0:1], v7, s42, 0
	s_mov_b64 s[0:1], 0
.LBB20_5:                               ;   in Loop: Header=BB20_3 Depth=1
	s_andn2_b64 vcc, exec, s[0:1]
	v_mov_b32_e32 v20, 0
	s_cbranch_vccnz .LBB20_16
; %bb.6:                                ;   in Loop: Header=BB20_3 Depth=1
	v_mad_i64_i32 v[3:4], s[0:1], v7, s42, 0
	v_mul_lo_u32 v9, v19, s16
	v_mov_b32_e32 v20, 0
	v_add_co_u32_e32 v5, vcc, v3, v5
	v_addc_co_u32_e32 v6, vcc, v4, v6, vcc
	v_subrev_u32_e32 v21, s20, v9
	v_ashrrev_i32_e32 v9, 31, v8
	v_sub_co_u32_e32 v8, vcc, v5, v8
	v_subb_co_u32_e32 v5, vcc, v6, v9, vcc
	v_mul_lo_u32 v10, s51, v5
	v_mov_b32_e32 v5, s26
	v_mov_b32_e32 v6, s27
	v_mul_lo_u32 v11, s50, v8
	v_mad_u64_u32 v[5:6], s[0:1], s51, v8, v[5:6]
	v_mov_b32_e32 v8, s24
	v_mov_b32_e32 v9, s25
	v_mad_i64_i32 v[7:8], s[0:1], v7, s12, v[8:9]
	v_add3_u32 v6, v11, v6, v10
	s_mov_b32 s52, 0
	s_mov_b32 s53, s19
	s_branch .LBB20_8
.LBB20_7:                               ;   in Loop: Header=BB20_8 Depth=2
	s_add_i32 s52, s52, 1
	s_add_i32 s53, s53, s17
	v_mov_b32_e32 v9, s49
	v_add_co_u32_e32 v5, vcc, s48, v5
	s_cmp_eq_u32 s52, s21
	v_addc_co_u32_e32 v6, vcc, v6, v9, vcc
	s_cbranch_scc1 .LBB20_16
.LBB20_8:                               ;   Parent Loop BB20_3 Depth=1
                                        ; =>  This Loop Header: Depth=2
                                        ;       Child Loop BB20_11 Depth 3
                                        ;         Child Loop BB20_14 Depth 4
	s_andn2_b64 vcc, exec, s[4:5]
	s_cbranch_vccnz .LBB20_7
; %bb.9:                                ;   in Loop: Header=BB20_8 Depth=2
	s_add_u32 s0, s47, s53
	s_addc_u32 s1, s46, 0
	s_mul_i32 s1, s9, s1
	s_mul_hi_u32 s28, s9, s0
	s_add_i32 s1, s28, s1
	s_mul_i32 s28, s36, s0
	s_mul_i32 s55, s9, s0
	;; [unrolled: 1-line block ×3, first 2 shown]
	s_add_i32 s54, s1, s28
	s_add_i32 s28, s0, s19
	s_cmp_lt_i32 s28, 0
	s_cselect_b64 s[0:1], -1, 0
	s_cmp_ge_i32 s28, s8
	s_cselect_b64 s[28:29], -1, 0
	v_mov_b32_e32 v10, v6
	s_mov_b32 s56, 0
	s_or_b64 s[28:29], s[0:1], s[28:29]
	v_mov_b32_e32 v9, v5
	v_mov_b32_e32 v22, v21
	s_branch .LBB20_11
.LBB20_10:                              ;   in Loop: Header=BB20_11 Depth=3
	s_add_i32 s56, s56, 1
	v_mov_b32_e32 v11, s40
	v_add_co_u32_e32 v9, vcc, s12, v9
	v_add_u32_e32 v22, s18, v22
	s_cmp_eq_u32 s56, s22
	v_addc_co_u32_e32 v10, vcc, v10, v11, vcc
	s_cbranch_scc1 .LBB20_7
.LBB20_11:                              ;   Parent Loop BB20_3 Depth=1
                                        ;     Parent Loop BB20_8 Depth=2
                                        ; =>    This Loop Header: Depth=3
                                        ;         Child Loop BB20_14 Depth 4
	s_andn2_b64 vcc, exec, s[6:7]
	s_cbranch_vccnz .LBB20_10
; %bb.12:                               ;   in Loop: Header=BB20_11 Depth=3
	v_mov_b32_e32 v11, s54
	v_add_co_u32_e32 v12, vcc, s55, v22
	v_addc_co_u32_e32 v11, vcc, 0, v11, vcc
	v_mul_lo_u32 v13, s23, v11
	v_mul_lo_u32 v14, s37, v12
	v_mad_u64_u32 v[11:12], s[0:1], s23, v12, v[7:8]
	s_mul_i32 s0, s56, s18
	s_mov_b32 s57, s12
	v_add3_u32 v12, v14, v12, v13
	v_add_u32_e32 v13, s0, v21
	v_cmp_gt_i32_e32 vcc, 0, v13
	v_cmp_le_i32_e64 s[0:1], s9, v13
	s_or_b64 s[0:1], vcc, s[0:1]
	v_mov_b32_e32 v14, v10
	s_nor_b64 s[0:1], s[28:29], s[0:1]
	v_mov_b32_e32 v13, v9
	s_branch .LBB20_14
.LBB20_13:                              ;   in Loop: Header=BB20_14 Depth=4
	s_or_b64 exec, exec, s[30:31]
	v_add_co_u32_e32 v11, vcc, 1, v11
	v_addc_co_u32_e32 v12, vcc, 0, v12, vcc
	s_add_i32 s57, s57, -1
	v_add_co_u32_e32 v13, vcc, 1, v13
	s_cmp_eq_u32 s57, 0
	v_addc_co_u32_e32 v14, vcc, 0, v14, vcc
	s_cbranch_scc1 .LBB20_10
.LBB20_14:                              ;   Parent Loop BB20_3 Depth=1
                                        ;     Parent Loop BB20_8 Depth=2
                                        ;       Parent Loop BB20_11 Depth=3
                                        ; =>      This Inner Loop Header: Depth=4
	s_and_saveexec_b64 s[30:31], s[0:1]
	s_cbranch_execz .LBB20_13
; %bb.15:                               ;   in Loop: Header=BB20_14 Depth=4
	global_load_sbyte v23, v[11:12], off
	global_load_sbyte v24, v[13:14], off
	s_waitcnt vmcnt(0)
	v_mad_i32_i24 v20, v24, v23, v20
	s_branch .LBB20_13
.LBB20_16:                              ;   in Loop: Header=BB20_3 Depth=1
	v_mad_i64_i32 v[1:2], s[0:1], v19, s10, v[1:2]
	s_mov_b64 s[0:1], -1
	v_add_co_u32_e32 v1, vcc, v1, v3
	v_addc_co_u32_e32 v2, vcc, v2, v4, vcc
	v_lshlrev_b64 v[1:2], 2, v[1:2]
	s_and_b64 vcc, exec, s[34:35]
	s_cbranch_vccz .LBB20_18
; %bb.17:                               ;   in Loop: Header=BB20_3 Depth=1
	v_mov_b32_e32 v4, s39
	v_add_co_u32_e32 v3, vcc, s38, v1
	v_addc_co_u32_e32 v4, vcc, v4, v2, vcc
	global_load_dword v6, v[3:4], off
	v_mul_lo_u32 v5, v20, v15
	s_waitcnt vmcnt(0)
	v_mad_u64_u32 v[5:6], s[0:1], v6, v16, v[5:6]
	s_mov_b64 s[0:1], 0
	global_store_dword v[3:4], v5, off
.LBB20_18:                              ;   in Loop: Header=BB20_3 Depth=1
	s_andn2_b64 vcc, exec, s[0:1]
	s_cbranch_vccnz .LBB20_2
; %bb.19:                               ;   in Loop: Header=BB20_3 Depth=1
	v_mov_b32_e32 v3, s39
	v_add_co_u32_e32 v1, vcc, s38, v1
	v_addc_co_u32_e32 v2, vcc, v3, v2, vcc
	global_store_dword v[1:2], v20, off
	s_branch .LBB20_2
.LBB20_20:
	s_endpgm
	.section	.rodata,"a",@progbits
	.p2align	6, 0x0
	.amdhsa_kernel naive_conv_ab_packed_fwd_nhwc_int8_t_int32_t_int32_t
		.amdhsa_group_segment_fixed_size 0
		.amdhsa_private_segment_fixed_size 0
		.amdhsa_kernarg_size 480
		.amdhsa_user_sgpr_count 6
		.amdhsa_user_sgpr_private_segment_buffer 1
		.amdhsa_user_sgpr_dispatch_ptr 0
		.amdhsa_user_sgpr_queue_ptr 0
		.amdhsa_user_sgpr_kernarg_segment_ptr 1
		.amdhsa_user_sgpr_dispatch_id 0
		.amdhsa_user_sgpr_flat_scratch_init 0
		.amdhsa_user_sgpr_private_segment_size 0
		.amdhsa_uses_dynamic_stack 0
		.amdhsa_system_sgpr_private_segment_wavefront_offset 0
		.amdhsa_system_sgpr_workgroup_id_x 1
		.amdhsa_system_sgpr_workgroup_id_y 0
		.amdhsa_system_sgpr_workgroup_id_z 0
		.amdhsa_system_sgpr_workgroup_info 0
		.amdhsa_system_vgpr_workitem_id 0
		.amdhsa_next_free_vgpr 25
		.amdhsa_next_free_sgpr 58
		.amdhsa_reserve_vcc 1
		.amdhsa_reserve_flat_scratch 0
		.amdhsa_float_round_mode_32 0
		.amdhsa_float_round_mode_16_64 0
		.amdhsa_float_denorm_mode_32 3
		.amdhsa_float_denorm_mode_16_64 3
		.amdhsa_dx10_clamp 1
		.amdhsa_ieee_mode 1
		.amdhsa_fp16_overflow 0
		.amdhsa_exception_fp_ieee_invalid_op 0
		.amdhsa_exception_fp_denorm_src 0
		.amdhsa_exception_fp_ieee_div_zero 0
		.amdhsa_exception_fp_ieee_overflow 0
		.amdhsa_exception_fp_ieee_underflow 0
		.amdhsa_exception_fp_ieee_inexact 0
		.amdhsa_exception_int_div_zero 0
	.end_amdhsa_kernel
	.text
.Lfunc_end20:
	.size	naive_conv_ab_packed_fwd_nhwc_int8_t_int32_t_int32_t, .Lfunc_end20-naive_conv_ab_packed_fwd_nhwc_int8_t_int32_t_int32_t
                                        ; -- End function
	.set naive_conv_ab_packed_fwd_nhwc_int8_t_int32_t_int32_t.num_vgpr, 25
	.set naive_conv_ab_packed_fwd_nhwc_int8_t_int32_t_int32_t.num_agpr, 0
	.set naive_conv_ab_packed_fwd_nhwc_int8_t_int32_t_int32_t.numbered_sgpr, 58
	.set naive_conv_ab_packed_fwd_nhwc_int8_t_int32_t_int32_t.num_named_barrier, 0
	.set naive_conv_ab_packed_fwd_nhwc_int8_t_int32_t_int32_t.private_seg_size, 0
	.set naive_conv_ab_packed_fwd_nhwc_int8_t_int32_t_int32_t.uses_vcc, 1
	.set naive_conv_ab_packed_fwd_nhwc_int8_t_int32_t_int32_t.uses_flat_scratch, 0
	.set naive_conv_ab_packed_fwd_nhwc_int8_t_int32_t_int32_t.has_dyn_sized_stack, 0
	.set naive_conv_ab_packed_fwd_nhwc_int8_t_int32_t_int32_t.has_recursion, 0
	.set naive_conv_ab_packed_fwd_nhwc_int8_t_int32_t_int32_t.has_indirect_call, 0
	.section	.AMDGPU.csdata,"",@progbits
; Kernel info:
; codeLenInByte = 1364
; TotalNumSgprs: 62
; NumVgprs: 25
; ScratchSize: 0
; MemoryBound: 0
; FloatMode: 240
; IeeeMode: 1
; LDSByteSize: 0 bytes/workgroup (compile time only)
; SGPRBlocks: 7
; VGPRBlocks: 6
; NumSGPRsForWavesPerEU: 62
; NumVGPRsForWavesPerEU: 25
; Occupancy: 9
; WaveLimiterHint : 0
; COMPUTE_PGM_RSRC2:SCRATCH_EN: 0
; COMPUTE_PGM_RSRC2:USER_SGPR: 6
; COMPUTE_PGM_RSRC2:TRAP_HANDLER: 0
; COMPUTE_PGM_RSRC2:TGID_X_EN: 1
; COMPUTE_PGM_RSRC2:TGID_Y_EN: 0
; COMPUTE_PGM_RSRC2:TGID_Z_EN: 0
; COMPUTE_PGM_RSRC2:TIDIG_COMP_CNT: 0
	.text
	.protected	naive_conv_ab_nonpacked_fwd_nhwc_int8_t_int32_t_int32_t ; -- Begin function naive_conv_ab_nonpacked_fwd_nhwc_int8_t_int32_t_int32_t
	.globl	naive_conv_ab_nonpacked_fwd_nhwc_int8_t_int32_t_int32_t
	.p2align	8
	.type	naive_conv_ab_nonpacked_fwd_nhwc_int8_t_int32_t_int32_t,@function
naive_conv_ab_nonpacked_fwd_nhwc_int8_t_int32_t_int32_t: ; @naive_conv_ab_nonpacked_fwd_nhwc_int8_t_int32_t_int32_t
; %bb.0:
	s_load_dwordx16 s[8:23], s[4:5], 0xa0
	s_abs_i32 s1, s6
	s_waitcnt lgkmcnt(0)
	s_abs_i32 s0, s13
	v_cvt_f32_u32_e32 v1, s0
	s_sub_i32 s2, 0, s0
	v_rcp_iflag_f32_e32 v1, v1
	v_mul_f32_e32 v1, 0x4f7ffffe, v1
	v_cvt_u32_f32_e32 v1, v1
	v_readfirstlane_b32 s3, v1
	s_mul_i32 s2, s2, s3
	s_mul_hi_u32 s2, s3, s2
	s_add_i32 s3, s3, s2
	s_mul_hi_u32 s2, s1, s3
	s_mul_i32 s3, s2, s0
	s_sub_i32 s1, s1, s3
	s_add_i32 s7, s2, 1
	s_sub_i32 s3, s1, s0
	s_cmp_ge_u32 s1, s0
	s_cselect_b32 s2, s7, s2
	s_cselect_b32 s1, s3, s1
	s_add_i32 s3, s2, 1
	s_cmp_ge_u32 s1, s0
	s_cselect_b32 s1, s3, s2
	s_abs_i32 s0, s10
	v_cvt_f32_u32_e32 v1, s0
	s_mul_i32 s10, s23, s11
	s_mul_i32 s23, s10, s14
	v_cmp_gt_i32_e32 vcc, s23, v0
	v_rcp_iflag_f32_e32 v1, v1
	v_mul_f32_e32 v1, 0x4f7ffffe, v1
	v_cvt_u32_f32_e32 v1, v1
	v_readfirstlane_b32 s2, v1
	s_and_saveexec_b64 s[24:25], vcc
	s_cbranch_execz .LBB21_20
; %bb.1:
	s_xor_b32 s3, s6, s13
	s_ashr_i32 s3, s3, 31
	s_xor_b32 s1, s1, s3
	s_sub_i32 s1, s1, s3
	s_sub_i32 s3, 0, s0
	s_mul_i32 s3, s3, s2
	s_mul_hi_u32 s3, s2, s3
	s_abs_i32 s14, s1
	s_add_i32 s2, s2, s3
	s_mul_hi_u32 s33, s14, s2
	s_ashr_i32 s7, s1, 31
	s_mul_i32 s1, s1, s13
	s_mul_i32 s33, s33, s0
	s_sub_i32 s6, s6, s1
	s_sub_i32 s1, s14, s33
	s_sub_i32 s13, s1, s0
	s_cmp_ge_u32 s1, s0
	s_cselect_b32 s1, s13, s1
	s_sub_i32 s13, s1, s0
	s_cmp_ge_u32 s1, s0
	s_cselect_b32 s0, s13, s1
	s_load_dwordx8 s[24:31], s[4:5], 0x0
	s_load_dwordx2 s[34:35], s[4:5], 0x20
	s_load_dwordx16 s[36:51], s[4:5], 0x28
	s_load_dwordx2 s[2:3], s[4:5], 0x98
	s_load_dwordx4 s[60:63], s[4:5], 0x88
	s_xor_b32 s0, s0, s7
	s_sub_i32 s52, s0, s7
	s_ashr_i32 s0, s52, 31
	s_waitcnt lgkmcnt(0)
	s_mul_i32 s1, s44, s0
	s_mul_hi_u32 s7, s44, s52
	s_add_i32 s1, s7, s1
	s_mul_i32 s7, s45, s52
	s_add_i32 s53, s1, s7
	s_mul_i32 s0, s2, s0
	s_mul_hi_u32 s1, s2, s52
	s_add_i32 s0, s1, s0
	s_mul_i32 s1, s3, s52
	s_add_i32 s1, s0, s1
	s_mul_i32 s0, s2, s52
	s_ashr_i32 s2, s6, 31
	s_mul_i32 s2, s62, s2
	s_mul_hi_u32 s3, s62, s6
	s_add_i32 s2, s3, s2
	s_mul_i32 s3, s63, s6
	s_add_i32 s3, s2, s3
	s_lshl_b64 s[0:1], s[0:1], 2
	s_mul_i32 s2, s62, s6
	s_add_u32 s7, s34, s0
	s_addc_u32 s14, s35, s1
	s_lshl_b64 s[0:1], s[2:3], 2
	s_add_u32 s13, s7, s0
	s_addc_u32 s33, s14, s1
	s_cmp_lt_i32 s21, 1
	s_mul_i32 s6, s6, s15
	s_cselect_b64 s[2:3], -1, 0
	s_sub_i32 s19, s6, s19
	s_cmp_gt_i32 s22, 0
	s_cselect_b64 s[6:7], -1, 0
	s_cmp_gt_i32 s12, 0
	s_cselect_b64 s[14:15], -1, 0
	s_abs_i32 s45, s10
	v_cvt_f32_u32_e32 v1, s45
	s_abs_i32 s62, s11
	v_cvt_f32_u32_e32 v3, s62
	v_cmp_neq_f64_e64 s[0:1], s[28:29], 1.0
	v_cmp_neq_f64_e64 s[34:35], s[30:31], 0
	v_rcp_iflag_f32_e32 v1, v1
	v_rcp_iflag_f32_e32 v3, v3
	s_ashr_i32 s63, s10, 31
	s_ashr_i32 s64, s11, 31
	v_mul_f32_e32 v1, 0x4f7ffffe, v1
	v_cvt_u32_f32_e32 v1, v1
	v_mul_f32_e32 v3, 0x4f7ffffe, v3
	v_cvt_u32_f32_e32 v3, v3
	s_or_b64 s[34:35], s[0:1], s[34:35]
	s_load_dword s1, s[4:5], 0xec
	s_sub_i32 s0, 0, s45
	v_mul_lo_u32 v2, s0, v1
	s_sub_i32 s0, 0, s62
	v_mul_lo_u32 v4, s0, v3
	s_mul_i32 s0, s44, s52
	s_waitcnt lgkmcnt(0)
	s_and_b32 s44, s1, 0xffff
	s_add_u32 s24, s24, s0
	s_addc_u32 s25, s25, s53
	v_mul_hi_u32 v2, v1, v2
	v_mul_hi_u32 v4, v3, v4
	s_load_dwordx8 s[52:59], s[4:5], 0x68
	v_cvt_i32_f64_e32 v13, s[28:29]
	v_cvt_i32_f64_e32 v14, s[30:31]
	v_add_u32_e32 v15, v1, v2
	v_add_u32_e32 v16, v3, v4
	s_mov_b64 s[28:29], 0
	s_branch .LBB21_3
.LBB21_2:                               ;   in Loop: Header=BB21_3 Depth=1
	v_add_u32_e32 v0, s44, v0
	v_cmp_le_i32_e32 vcc, s23, v0
	s_or_b64 s[28:29], vcc, s[28:29]
	s_andn2_b64 exec, exec, s[28:29]
	s_cbranch_execz .LBB21_20
.LBB21_3:                               ; =>This Loop Header: Depth=1
                                        ;     Child Loop BB21_8 Depth 2
                                        ;       Child Loop BB21_11 Depth 3
                                        ;         Child Loop BB21_14 Depth 4
	v_sub_u32_e32 v1, 0, v0
	v_max_i32_e32 v1, v0, v1
	v_mul_hi_u32 v2, v1, v15
	v_ashrrev_i32_e32 v4, 31, v0
	v_xor_b32_e32 v4, s63, v4
	s_mov_b64 s[0:1], -1
	v_mul_lo_u32 v3, v2, s45
	v_add_u32_e32 v5, 1, v2
	v_sub_u32_e32 v1, v1, v3
	v_cmp_le_u32_e32 vcc, s45, v1
	v_subrev_u32_e32 v3, s45, v1
	v_cndmask_b32_e32 v2, v2, v5, vcc
	v_cndmask_b32_e32 v1, v1, v3, vcc
	v_add_u32_e32 v3, 1, v2
	v_cmp_le_u32_e32 vcc, s45, v1
	v_cndmask_b32_e32 v1, v2, v3, vcc
	v_xor_b32_e32 v1, v1, v4
	v_sub_u32_e32 v17, v1, v4
	v_mul_lo_u32 v1, v17, s10
	v_sub_u32_e32 v1, v0, v1
	v_sub_u32_e32 v2, 0, v1
	v_max_i32_e32 v3, v1, v2
	v_mul_hi_u32 v4, v3, v16
	v_ashrrev_i32_e32 v2, 31, v1
	v_xor_b32_e32 v6, s64, v2
	v_mul_lo_u32 v5, v4, s62
	v_add_u32_e32 v7, 1, v4
	v_sub_u32_e32 v3, v3, v5
	v_cmp_le_u32_e32 vcc, s62, v3
	v_subrev_u32_e32 v5, s62, v3
	v_cndmask_b32_e32 v4, v4, v7, vcc
	v_cndmask_b32_e32 v3, v3, v5, vcc
	v_add_u32_e32 v5, 1, v4
	v_cmp_le_u32_e32 vcc, s62, v3
	v_cndmask_b32_e32 v3, v4, v5, vcc
	v_xor_b32_e32 v3, v3, v6
	v_sub_u32_e32 v18, v3, v6
	v_mul_lo_u32 v3, v18, s11
	s_andn2_b64 vcc, exec, s[2:3]
	v_ashrrev_i32_e32 v19, 31, v18
	v_sub_u32_e32 v20, v1, v3
	v_ashrrev_i32_e32 v21, 31, v20
	s_cbranch_vccnz .LBB21_5
; %bb.4:                                ;   in Loop: Header=BB21_3 Depth=1
	s_mov_b64 s[0:1], 0
.LBB21_5:                               ;   in Loop: Header=BB21_3 Depth=1
	s_andn2_b64 vcc, exec, s[0:1]
	v_mov_b32_e32 v22, 0
	s_cbranch_vccnz .LBB21_16
; %bb.6:                                ;   in Loop: Header=BB21_3 Depth=1
	s_waitcnt lgkmcnt(0)
	v_mul_lo_u32 v6, s55, v18
	v_mul_lo_u32 v7, s54, v19
	v_mad_u64_u32 v[4:5], s[0:1], s54, v18, 0
	v_sub_co_u32_e32 v1, vcc, v1, v3
	v_add3_u32 v5, v5, v7, v6
	v_ashrrev_i32_e32 v6, 31, v3
	v_subb_co_u32_e32 v2, vcc, v2, v6, vcc
	v_mad_u64_u32 v[3:4], s[0:1], s52, v1, v[4:5]
	v_mul_lo_u32 v2, s52, v2
	v_mul_lo_u32 v1, s53, v1
	;; [unrolled: 1-line block ×5, first 2 shown]
	v_add3_u32 v4, v1, v4, v2
	v_mov_b32_e32 v1, s24
	v_mov_b32_e32 v2, s25
	v_mad_u64_u32 v[1:2], s[0:1], s38, v18, v[1:2]
	v_mov_b32_e32 v5, s27
	v_add_co_u32_e32 v3, vcc, s26, v3
	v_subrev_u32_e32 v23, s20, v8
	v_addc_co_u32_e32 v4, vcc, v5, v4, vcc
	v_add3_u32 v2, v6, v2, v7
	v_mov_b32_e32 v22, 0
	s_mov_b32 s65, 0
	s_mov_b32 s66, s19
	s_branch .LBB21_8
.LBB21_7:                               ;   in Loop: Header=BB21_8 Depth=2
	s_add_i32 s65, s65, 1
	v_mov_b32_e32 v5, s51
	s_add_i32 s66, s66, s17
	v_add_co_u32_e32 v3, vcc, s50, v3
	s_cmp_eq_u32 s65, s21
	v_addc_co_u32_e32 v4, vcc, v4, v5, vcc
	s_cbranch_scc1 .LBB21_16
.LBB21_8:                               ;   Parent Loop BB21_3 Depth=1
                                        ; =>  This Loop Header: Depth=2
                                        ;       Child Loop BB21_11 Depth 3
                                        ;         Child Loop BB21_14 Depth 4
	s_andn2_b64 vcc, exec, s[6:7]
	s_cbranch_vccnz .LBB21_7
; %bb.9:                                ;   in Loop: Header=BB21_8 Depth=2
	s_mul_i32 s0, s65, s17
	s_add_i32 s4, s0, s19
	s_cmp_lt_i32 s4, 0
	v_mov_b32_e32 v5, s66
	s_cselect_b64 s[0:1], -1, 0
	s_cmp_ge_i32 s4, s8
	v_mad_u64_u32 v[5:6], s[4:5], s42, v5, v[1:2]
	s_cselect_b64 s[4:5], -1, 0
	s_or_b64 s[4:5], s[0:1], s[4:5]
	s_mul_i32 s0, s43, s66
	v_mov_b32_e32 v8, v4
	s_mov_b32 s67, 0
	v_add_u32_e32 v6, s0, v6
	v_mov_b32_e32 v24, v23
	v_mov_b32_e32 v7, v3
	s_branch .LBB21_11
.LBB21_10:                              ;   in Loop: Header=BB21_11 Depth=3
	s_add_i32 s67, s67, 1
	v_mov_b32_e32 v9, s49
	v_add_co_u32_e32 v7, vcc, s48, v7
	v_addc_co_u32_e32 v8, vcc, v8, v9, vcc
	s_cmp_eq_u32 s67, s22
	v_add_u32_e32 v24, s18, v24
	s_cbranch_scc1 .LBB21_7
.LBB21_11:                              ;   Parent Loop BB21_3 Depth=1
                                        ;     Parent Loop BB21_8 Depth=2
                                        ; =>    This Loop Header: Depth=3
                                        ;         Child Loop BB21_14 Depth 4
	s_andn2_b64 vcc, exec, s[14:15]
	s_cbranch_vccnz .LBB21_10
; %bb.12:                               ;   in Loop: Header=BB21_11 Depth=3
	v_mad_u64_u32 v[9:10], s[0:1], s40, v24, v[5:6]
	s_mul_i32 s30, s67, s18
	s_mov_b32 s68, s12
	v_mad_u64_u32 v[10:11], s[0:1], s41, v24, v[10:11]
	v_add_u32_e32 v11, s30, v23
	v_cmp_gt_i32_e32 vcc, 0, v11
	v_cmp_le_i32_e64 s[0:1], s9, v11
	s_or_b64 s[0:1], vcc, s[0:1]
	v_mov_b32_e32 v12, v8
	s_nor_b64 s[0:1], s[4:5], s[0:1]
	v_mov_b32_e32 v11, v7
	s_branch .LBB21_14
.LBB21_13:                              ;   in Loop: Header=BB21_14 Depth=4
	s_or_b64 exec, exec, s[30:31]
	v_mov_b32_e32 v25, s47
	v_add_co_u32_e32 v11, vcc, s46, v11
	v_addc_co_u32_e32 v12, vcc, v12, v25, vcc
	s_add_i32 s68, s68, -1
	v_mov_b32_e32 v25, s37
	v_add_co_u32_e32 v9, vcc, s36, v9
	s_cmp_eq_u32 s68, 0
	v_addc_co_u32_e32 v10, vcc, v10, v25, vcc
	s_cbranch_scc1 .LBB21_10
.LBB21_14:                              ;   Parent Loop BB21_3 Depth=1
                                        ;     Parent Loop BB21_8 Depth=2
                                        ;       Parent Loop BB21_11 Depth=3
                                        ; =>      This Inner Loop Header: Depth=4
	s_and_saveexec_b64 s[30:31], s[0:1]
	s_cbranch_execz .LBB21_13
; %bb.15:                               ;   in Loop: Header=BB21_14 Depth=4
	global_load_sbyte v25, v[9:10], off
	global_load_sbyte v26, v[11:12], off
	s_waitcnt vmcnt(0)
	v_mad_i32_i24 v22, v26, v25, v22
	s_branch .LBB21_13
.LBB21_16:                              ;   in Loop: Header=BB21_3 Depth=1
	v_ashrrev_i32_e32 v3, 31, v17
	v_mul_lo_u32 v4, s61, v17
	v_mad_u64_u32 v[1:2], s[0:1], s60, v17, 0
	v_mul_lo_u32 v3, s60, v3
	s_and_b64 vcc, exec, s[34:35]
	v_add3_u32 v2, v2, v3, v4
	s_waitcnt lgkmcnt(0)
	v_mul_lo_u32 v3, v20, s57
	v_mul_lo_u32 v4, v21, s56
	v_mad_u64_u32 v[1:2], s[0:1], v20, s56, v[1:2]
	v_add3_u32 v2, v4, v2, v3
	v_mul_lo_u32 v3, v18, s59
	v_mul_lo_u32 v4, v19, s58
	v_mad_u64_u32 v[1:2], s[0:1], v18, s58, v[1:2]
	s_mov_b64 s[0:1], -1
	v_add3_u32 v2, v4, v2, v3
	v_lshlrev_b64 v[1:2], 2, v[1:2]
	s_cbranch_vccz .LBB21_18
; %bb.17:                               ;   in Loop: Header=BB21_3 Depth=1
	v_mov_b32_e32 v4, s33
	v_add_co_u32_e32 v3, vcc, s13, v1
	v_addc_co_u32_e32 v4, vcc, v4, v2, vcc
	global_load_dword v6, v[3:4], off
	v_mul_lo_u32 v5, v22, v13
	s_waitcnt vmcnt(0)
	v_mad_u64_u32 v[5:6], s[0:1], v6, v14, v[5:6]
	s_mov_b64 s[0:1], 0
	global_store_dword v[3:4], v5, off
.LBB21_18:                              ;   in Loop: Header=BB21_3 Depth=1
	s_andn2_b64 vcc, exec, s[0:1]
	s_cbranch_vccnz .LBB21_2
; %bb.19:                               ;   in Loop: Header=BB21_3 Depth=1
	v_mov_b32_e32 v3, s33
	v_add_co_u32_e32 v1, vcc, s13, v1
	v_addc_co_u32_e32 v2, vcc, v3, v2, vcc
	global_store_dword v[1:2], v22, off
	s_branch .LBB21_2
.LBB21_20:
	s_endpgm
	.section	.rodata,"a",@progbits
	.p2align	6, 0x0
	.amdhsa_kernel naive_conv_ab_nonpacked_fwd_nhwc_int8_t_int32_t_int32_t
		.amdhsa_group_segment_fixed_size 0
		.amdhsa_private_segment_fixed_size 0
		.amdhsa_kernarg_size 480
		.amdhsa_user_sgpr_count 6
		.amdhsa_user_sgpr_private_segment_buffer 1
		.amdhsa_user_sgpr_dispatch_ptr 0
		.amdhsa_user_sgpr_queue_ptr 0
		.amdhsa_user_sgpr_kernarg_segment_ptr 1
		.amdhsa_user_sgpr_dispatch_id 0
		.amdhsa_user_sgpr_flat_scratch_init 0
		.amdhsa_user_sgpr_private_segment_size 0
		.amdhsa_uses_dynamic_stack 0
		.amdhsa_system_sgpr_private_segment_wavefront_offset 0
		.amdhsa_system_sgpr_workgroup_id_x 1
		.amdhsa_system_sgpr_workgroup_id_y 0
		.amdhsa_system_sgpr_workgroup_id_z 0
		.amdhsa_system_sgpr_workgroup_info 0
		.amdhsa_system_vgpr_workitem_id 0
		.amdhsa_next_free_vgpr 27
		.amdhsa_next_free_sgpr 69
		.amdhsa_reserve_vcc 1
		.amdhsa_reserve_flat_scratch 0
		.amdhsa_float_round_mode_32 0
		.amdhsa_float_round_mode_16_64 0
		.amdhsa_float_denorm_mode_32 3
		.amdhsa_float_denorm_mode_16_64 3
		.amdhsa_dx10_clamp 1
		.amdhsa_ieee_mode 1
		.amdhsa_fp16_overflow 0
		.amdhsa_exception_fp_ieee_invalid_op 0
		.amdhsa_exception_fp_denorm_src 0
		.amdhsa_exception_fp_ieee_div_zero 0
		.amdhsa_exception_fp_ieee_overflow 0
		.amdhsa_exception_fp_ieee_underflow 0
		.amdhsa_exception_fp_ieee_inexact 0
		.amdhsa_exception_int_div_zero 0
	.end_amdhsa_kernel
	.text
.Lfunc_end21:
	.size	naive_conv_ab_nonpacked_fwd_nhwc_int8_t_int32_t_int32_t, .Lfunc_end21-naive_conv_ab_nonpacked_fwd_nhwc_int8_t_int32_t_int32_t
                                        ; -- End function
	.set naive_conv_ab_nonpacked_fwd_nhwc_int8_t_int32_t_int32_t.num_vgpr, 27
	.set naive_conv_ab_nonpacked_fwd_nhwc_int8_t_int32_t_int32_t.num_agpr, 0
	.set naive_conv_ab_nonpacked_fwd_nhwc_int8_t_int32_t_int32_t.numbered_sgpr, 69
	.set naive_conv_ab_nonpacked_fwd_nhwc_int8_t_int32_t_int32_t.num_named_barrier, 0
	.set naive_conv_ab_nonpacked_fwd_nhwc_int8_t_int32_t_int32_t.private_seg_size, 0
	.set naive_conv_ab_nonpacked_fwd_nhwc_int8_t_int32_t_int32_t.uses_vcc, 1
	.set naive_conv_ab_nonpacked_fwd_nhwc_int8_t_int32_t_int32_t.uses_flat_scratch, 0
	.set naive_conv_ab_nonpacked_fwd_nhwc_int8_t_int32_t_int32_t.has_dyn_sized_stack, 0
	.set naive_conv_ab_nonpacked_fwd_nhwc_int8_t_int32_t_int32_t.has_recursion, 0
	.set naive_conv_ab_nonpacked_fwd_nhwc_int8_t_int32_t_int32_t.has_indirect_call, 0
	.section	.AMDGPU.csdata,"",@progbits
; Kernel info:
; codeLenInByte = 1484
; TotalNumSgprs: 73
; NumVgprs: 27
; ScratchSize: 0
; MemoryBound: 0
; FloatMode: 240
; IeeeMode: 1
; LDSByteSize: 0 bytes/workgroup (compile time only)
; SGPRBlocks: 9
; VGPRBlocks: 6
; NumSGPRsForWavesPerEU: 73
; NumVGPRsForWavesPerEU: 27
; Occupancy: 9
; WaveLimiterHint : 0
; COMPUTE_PGM_RSRC2:SCRATCH_EN: 0
; COMPUTE_PGM_RSRC2:USER_SGPR: 6
; COMPUTE_PGM_RSRC2:TRAP_HANDLER: 0
; COMPUTE_PGM_RSRC2:TGID_X_EN: 1
; COMPUTE_PGM_RSRC2:TGID_Y_EN: 0
; COMPUTE_PGM_RSRC2:TGID_Z_EN: 0
; COMPUTE_PGM_RSRC2:TIDIG_COMP_CNT: 0
	.text
	.protected	naive_conv_ab_packed_fwd_nhwc_int8_t_int32_t_float ; -- Begin function naive_conv_ab_packed_fwd_nhwc_int8_t_int32_t_float
	.globl	naive_conv_ab_packed_fwd_nhwc_int8_t_int32_t_float
	.p2align	8
	.type	naive_conv_ab_packed_fwd_nhwc_int8_t_int32_t_float,@function
naive_conv_ab_packed_fwd_nhwc_int8_t_int32_t_float: ; @naive_conv_ab_packed_fwd_nhwc_int8_t_int32_t_float
; %bb.0:
	s_load_dwordx16 s[8:23], s[4:5], 0xa0
	s_abs_i32 s1, s6
	s_waitcnt lgkmcnt(0)
	s_abs_i32 s0, s13
	v_cvt_f32_u32_e32 v1, s0
	s_sub_i32 s2, 0, s0
	v_rcp_iflag_f32_e32 v1, v1
	v_mul_f32_e32 v1, 0x4f7ffffe, v1
	v_cvt_u32_f32_e32 v1, v1
	v_readfirstlane_b32 s3, v1
	s_mul_i32 s2, s2, s3
	s_mul_hi_u32 s2, s3, s2
	s_add_i32 s3, s3, s2
	s_mul_hi_u32 s2, s1, s3
	s_mul_i32 s3, s2, s0
	s_sub_i32 s1, s1, s3
	s_add_i32 s7, s2, 1
	s_sub_i32 s3, s1, s0
	s_cmp_ge_u32 s1, s0
	s_cselect_b32 s2, s7, s2
	s_cselect_b32 s1, s3, s1
	s_add_i32 s3, s2, 1
	s_cmp_ge_u32 s1, s0
	s_cselect_b32 s1, s3, s2
	s_abs_i32 s0, s10
	v_cvt_f32_u32_e32 v1, s0
	s_mul_i32 s10, s23, s11
	s_mul_i32 s33, s10, s14
	v_cmp_gt_i32_e32 vcc, s33, v0
	v_rcp_iflag_f32_e32 v1, v1
	v_mul_f32_e32 v1, 0x4f7ffffe, v1
	v_cvt_u32_f32_e32 v1, v1
	v_readfirstlane_b32 s2, v1
	s_and_saveexec_b64 s[24:25], vcc
	s_cbranch_execz .LBB22_18
; %bb.1:
	s_xor_b32 s3, s6, s13
	s_ashr_i32 s3, s3, 31
	s_sub_i32 s36, 0, s0
	s_xor_b32 s1, s1, s3
	s_mul_i32 s36, s36, s2
	s_sub_i32 s1, s1, s3
	s_mul_hi_u32 s36, s2, s36
	s_abs_i32 s7, s1
	s_add_i32 s2, s2, s36
	s_mul_hi_u32 s2, s7, s2
	s_ashr_i32 s3, s1, 31
	s_mul_i32 s1, s1, s13
	s_mul_i32 s2, s2, s0
	s_sub_i32 s6, s6, s1
	s_sub_i32 s1, s7, s2
	;; [unrolled: 1-line block ×3, first 2 shown]
	s_cmp_ge_u32 s1, s0
	s_cselect_b32 s1, s2, s1
	s_sub_i32 s2, s1, s0
	s_cmp_ge_u32 s1, s0
	s_cselect_b32 s0, s2, s1
	s_xor_b32 s0, s0, s3
	s_mul_i32 s23, s23, s12
	s_sub_i32 s47, s0, s3
	s_ashr_i32 s36, s9, 31
	s_ashr_i32 s37, s23, 31
	s_mul_hi_i32 s0, s47, s13
	s_mul_i32 s1, s47, s13
	s_ashr_i32 s13, s10, 31
	s_ashr_i32 s2, s6, 31
	s_add_u32 s3, s1, s6
	s_load_dwordx8 s[24:31], s[4:5], 0x0
	s_load_dwordx2 s[34:35], s[4:5], 0x20
	s_addc_u32 s0, s0, s2
	s_mul_hi_i32 s1, s10, s14
	s_mul_i32 s0, s33, s0
	s_mul_hi_u32 s2, s33, s3
	s_add_i32 s0, s2, s0
	s_mul_i32 s1, s1, s3
	s_add_i32 s1, s0, s1
	s_mul_i32 s0, s33, s3
	s_lshl_b64 s[0:1], s[0:1], 2
	s_waitcnt lgkmcnt(0)
	s_add_u32 s38, s34, s0
	s_addc_u32 s39, s35, s1
	s_cmp_lt_i32 s21, 1
	s_mul_i32 s6, s6, s15
	s_cselect_b64 s[2:3], -1, 0
	s_sub_i32 s19, s6, s19
	s_cmp_gt_i32 s22, 0
	s_load_dword s45, s[4:5], 0xec
	s_cselect_b64 s[4:5], -1, 0
	s_cmp_gt_i32 s12, 0
	s_cselect_b64 s[6:7], -1, 0
	s_abs_i32 s43, s10
	v_cvt_f32_u32_e32 v1, s43
	s_abs_i32 s44, s11
	v_cvt_f32_u32_e32 v2, s44
	v_cmp_neq_f64_e64 s[0:1], s[28:29], 1.0
	v_rcp_iflag_f32_e32 v1, v1
	v_cmp_neq_f64_e64 s[34:35], s[30:31], 0
	v_rcp_iflag_f32_e32 v2, v2
	s_sub_i32 s46, 0, s43
	v_mul_f32_e32 v1, 0x4f7ffffe, v1
	v_cvt_u32_f32_e32 v1, v1
	v_mul_f32_e32 v2, 0x4f7ffffe, v2
	v_cvt_u32_f32_e32 v2, v2
	s_ashr_i32 s49, s21, 31
	v_mul_lo_u32 v3, s46, v1
	s_sub_i32 s46, 0, s44
	v_mul_lo_u32 v4, s46, v2
	v_cvt_i32_f64_e32 v16, s[28:29]
	v_mul_hi_u32 v3, v1, v3
	v_cvt_i32_f64_e32 v17, s[30:31]
	v_mul_hi_u32 v4, v2, v4
	s_mul_i32 s48, s22, s12
	s_or_b64 s[34:35], s[0:1], s[34:35]
	s_mul_i32 s0, s48, s49
	s_mul_hi_u32 s1, s48, s21
	s_mul_hi_i32 s49, s22, s12
	s_add_i32 s0, s1, s0
	s_mul_i32 s1, s49, s21
	s_ashr_i32 s40, s12, 31
	s_ashr_i32 s41, s11, 31
	s_mov_b32 s42, s11
	s_mov_b64 s[14:15], 0
	s_waitcnt lgkmcnt(0)
	s_and_b32 s45, s45, 0xffff
	v_add_u32_e32 v18, v1, v3
	v_add_u32_e32 v19, v2, v4
	s_mul_hi_i32 s46, s8, s47
	s_mul_i32 s47, s8, s47
	s_add_i32 s50, s0, s1
	s_mul_i32 s51, s48, s21
	s_branch .LBB22_3
.LBB22_2:                               ;   in Loop: Header=BB22_3 Depth=1
	v_cvt_f32_i32_e32 v3, v5
	v_add_u32_e32 v0, s45, v0
	v_cmp_le_i32_e32 vcc, s33, v0
	s_or_b64 s[14:15], vcc, s[14:15]
	global_store_dword v[1:2], v3, off
	s_andn2_b64 exec, exec, s[14:15]
	s_cbranch_execz .LBB22_18
.LBB22_3:                               ; =>This Loop Header: Depth=1
                                        ;     Child Loop BB22_8 Depth 2
                                        ;       Child Loop BB22_11 Depth 3
                                        ;         Child Loop BB22_14 Depth 4
	v_sub_u32_e32 v1, 0, v0
	v_max_i32_e32 v1, v0, v1
	v_mul_hi_u32 v2, v1, v18
	v_ashrrev_i32_e32 v4, 31, v0
	v_xor_b32_e32 v4, s13, v4
	s_mov_b64 s[0:1], -1
	v_mul_lo_u32 v3, v2, s43
	v_add_u32_e32 v5, 1, v2
	v_sub_u32_e32 v1, v1, v3
	v_cmp_le_u32_e32 vcc, s43, v1
	v_subrev_u32_e32 v3, s43, v1
	v_cndmask_b32_e32 v2, v2, v5, vcc
	v_cndmask_b32_e32 v1, v1, v3, vcc
	v_add_u32_e32 v3, 1, v2
	v_cmp_le_u32_e32 vcc, s43, v1
	v_cndmask_b32_e32 v1, v2, v3, vcc
	v_xor_b32_e32 v1, v1, v4
	v_sub_u32_e32 v20, v1, v4
	v_mul_lo_u32 v1, v20, s10
	v_sub_u32_e32 v6, v0, v1
	v_sub_u32_e32 v1, 0, v6
	v_max_i32_e32 v1, v6, v1
	v_mul_hi_u32 v2, v1, v19
	v_ashrrev_i32_e32 v7, 31, v6
	v_xor_b32_e32 v4, s41, v7
	v_mul_lo_u32 v3, v2, s44
	v_add_u32_e32 v5, 1, v2
	v_sub_u32_e32 v1, v1, v3
	v_cmp_le_u32_e32 vcc, s44, v1
	v_subrev_u32_e32 v3, s44, v1
	v_cndmask_b32_e32 v2, v2, v5, vcc
	v_cndmask_b32_e32 v1, v1, v3, vcc
	v_add_u32_e32 v3, 1, v2
	v_cmp_le_u32_e32 vcc, s44, v1
	v_cndmask_b32_e32 v1, v2, v3, vcc
	v_xor_b32_e32 v1, v1, v4
	v_sub_u32_e32 v8, v1, v4
	v_mul_lo_u32 v9, v8, s11
	s_andn2_b64 vcc, exec, s[2:3]
                                        ; implicit-def: $vgpr3_vgpr4
	v_sub_u32_e32 v1, v6, v9
	v_ashrrev_i32_e32 v2, 31, v1
	s_cbranch_vccnz .LBB22_5
; %bb.4:                                ;   in Loop: Header=BB22_3 Depth=1
	v_mad_i64_i32 v[3:4], s[0:1], v8, s42, 0
	s_mov_b64 s[0:1], 0
.LBB22_5:                               ;   in Loop: Header=BB22_3 Depth=1
	s_andn2_b64 vcc, exec, s[0:1]
	v_mov_b32_e32 v5, 0
	s_cbranch_vccnz .LBB22_16
; %bb.6:                                ;   in Loop: Header=BB22_3 Depth=1
	v_mul_lo_u32 v5, v20, s16
	v_mad_i64_i32 v[3:4], s[0:1], v8, s42, 0
	s_mov_b32 s52, 0
	v_subrev_u32_e32 v21, s20, v5
	v_add_co_u32_e32 v5, vcc, v3, v6
	v_addc_co_u32_e32 v6, vcc, v4, v7, vcc
	v_ashrrev_i32_e32 v7, 31, v9
	v_sub_co_u32_e32 v9, vcc, v5, v9
	v_subb_co_u32_e32 v5, vcc, v6, v7, vcc
	v_mul_lo_u32 v11, s51, v5
	v_mov_b32_e32 v5, s26
	v_mov_b32_e32 v6, s27
	v_mul_lo_u32 v12, s50, v9
	v_mad_u64_u32 v[6:7], s[0:1], s51, v9, v[5:6]
	v_mov_b32_e32 v9, s24
	v_mov_b32_e32 v10, s25
	v_mad_i64_i32 v[8:9], s[0:1], v8, s12, v[9:10]
	v_add3_u32 v7, v12, v7, v11
	v_mov_b32_e32 v5, 0
	s_mov_b32 s53, s19
	s_branch .LBB22_8
.LBB22_7:                               ;   in Loop: Header=BB22_8 Depth=2
	s_add_i32 s52, s52, 1
	s_add_i32 s53, s53, s17
	v_mov_b32_e32 v10, s49
	v_add_co_u32_e32 v6, vcc, s48, v6
	s_cmp_eq_u32 s52, s21
	v_addc_co_u32_e32 v7, vcc, v7, v10, vcc
	s_cbranch_scc1 .LBB22_16
.LBB22_8:                               ;   Parent Loop BB22_3 Depth=1
                                        ; =>  This Loop Header: Depth=2
                                        ;       Child Loop BB22_11 Depth 3
                                        ;         Child Loop BB22_14 Depth 4
	s_andn2_b64 vcc, exec, s[4:5]
	s_cbranch_vccnz .LBB22_7
; %bb.9:                                ;   in Loop: Header=BB22_8 Depth=2
	s_add_u32 s0, s47, s53
	s_addc_u32 s1, s46, 0
	s_mul_i32 s1, s9, s1
	s_mul_hi_u32 s28, s9, s0
	s_add_i32 s1, s28, s1
	s_mul_i32 s28, s36, s0
	s_mul_i32 s55, s9, s0
	;; [unrolled: 1-line block ×3, first 2 shown]
	s_add_i32 s54, s1, s28
	s_add_i32 s28, s0, s19
	s_cmp_lt_i32 s28, 0
	s_cselect_b64 s[0:1], -1, 0
	s_cmp_ge_i32 s28, s8
	s_cselect_b64 s[28:29], -1, 0
	v_mov_b32_e32 v11, v7
	s_mov_b32 s56, 0
	s_or_b64 s[28:29], s[0:1], s[28:29]
	v_mov_b32_e32 v10, v6
	v_mov_b32_e32 v22, v21
	s_branch .LBB22_11
.LBB22_10:                              ;   in Loop: Header=BB22_11 Depth=3
	s_add_i32 s56, s56, 1
	v_mov_b32_e32 v12, s40
	v_add_co_u32_e32 v10, vcc, s12, v10
	v_add_u32_e32 v22, s18, v22
	s_cmp_eq_u32 s56, s22
	v_addc_co_u32_e32 v11, vcc, v11, v12, vcc
	s_cbranch_scc1 .LBB22_7
.LBB22_11:                              ;   Parent Loop BB22_3 Depth=1
                                        ;     Parent Loop BB22_8 Depth=2
                                        ; =>    This Loop Header: Depth=3
                                        ;         Child Loop BB22_14 Depth 4
	s_andn2_b64 vcc, exec, s[6:7]
	s_cbranch_vccnz .LBB22_10
; %bb.12:                               ;   in Loop: Header=BB22_11 Depth=3
	v_mov_b32_e32 v12, s54
	v_add_co_u32_e32 v13, vcc, s55, v22
	v_addc_co_u32_e32 v12, vcc, 0, v12, vcc
	v_mul_lo_u32 v14, s23, v12
	v_mul_lo_u32 v15, s37, v13
	v_mad_u64_u32 v[12:13], s[0:1], s23, v13, v[8:9]
	s_mul_i32 s0, s56, s18
	s_mov_b32 s57, s12
	v_add3_u32 v13, v15, v13, v14
	v_add_u32_e32 v14, s0, v21
	v_cmp_gt_i32_e32 vcc, 0, v14
	v_cmp_le_i32_e64 s[0:1], s9, v14
	s_or_b64 s[0:1], vcc, s[0:1]
	v_mov_b32_e32 v15, v11
	s_nor_b64 s[0:1], s[28:29], s[0:1]
	v_mov_b32_e32 v14, v10
	s_branch .LBB22_14
.LBB22_13:                              ;   in Loop: Header=BB22_14 Depth=4
	s_or_b64 exec, exec, s[30:31]
	v_add_co_u32_e32 v12, vcc, 1, v12
	v_addc_co_u32_e32 v13, vcc, 0, v13, vcc
	s_add_i32 s57, s57, -1
	v_add_co_u32_e32 v14, vcc, 1, v14
	s_cmp_eq_u32 s57, 0
	v_addc_co_u32_e32 v15, vcc, 0, v15, vcc
	s_cbranch_scc1 .LBB22_10
.LBB22_14:                              ;   Parent Loop BB22_3 Depth=1
                                        ;     Parent Loop BB22_8 Depth=2
                                        ;       Parent Loop BB22_11 Depth=3
                                        ; =>      This Inner Loop Header: Depth=4
	s_and_saveexec_b64 s[30:31], s[0:1]
	s_cbranch_execz .LBB22_13
; %bb.15:                               ;   in Loop: Header=BB22_14 Depth=4
	global_load_sbyte v23, v[12:13], off
	global_load_sbyte v24, v[14:15], off
	s_waitcnt vmcnt(0)
	v_mad_i32_i24 v5, v24, v23, v5
	s_branch .LBB22_13
.LBB22_16:                              ;   in Loop: Header=BB22_3 Depth=1
	v_mad_i64_i32 v[6:7], s[0:1], v20, s10, 0
	v_lshlrev_b64 v[3:4], 2, v[3:4]
	v_mov_b32_e32 v8, s39
	v_add_co_u32_e32 v9, vcc, s38, v3
	v_addc_co_u32_e32 v8, vcc, v8, v4, vcc
	v_lshlrev_b64 v[3:4], 2, v[6:7]
	v_lshlrev_b64 v[1:2], 2, v[1:2]
	v_add_co_u32_e32 v3, vcc, v9, v3
	v_addc_co_u32_e32 v4, vcc, v8, v4, vcc
	v_add_co_u32_e64 v1, s[0:1], v3, v1
	s_andn2_b64 vcc, exec, s[34:35]
	v_addc_co_u32_e64 v2, s[0:1], v4, v2, s[0:1]
	s_cbranch_vccnz .LBB22_2
; %bb.17:                               ;   in Loop: Header=BB22_3 Depth=1
	global_load_dword v4, v[1:2], off
	v_mul_lo_u32 v3, v5, v16
	s_waitcnt vmcnt(0)
	v_cvt_i32_f32_e32 v4, v4
	v_mad_u64_u32 v[5:6], s[0:1], v4, v17, v[3:4]
	s_branch .LBB22_2
.LBB22_18:
	s_endpgm
	.section	.rodata,"a",@progbits
	.p2align	6, 0x0
	.amdhsa_kernel naive_conv_ab_packed_fwd_nhwc_int8_t_int32_t_float
		.amdhsa_group_segment_fixed_size 0
		.amdhsa_private_segment_fixed_size 0
		.amdhsa_kernarg_size 480
		.amdhsa_user_sgpr_count 6
		.amdhsa_user_sgpr_private_segment_buffer 1
		.amdhsa_user_sgpr_dispatch_ptr 0
		.amdhsa_user_sgpr_queue_ptr 0
		.amdhsa_user_sgpr_kernarg_segment_ptr 1
		.amdhsa_user_sgpr_dispatch_id 0
		.amdhsa_user_sgpr_flat_scratch_init 0
		.amdhsa_user_sgpr_private_segment_size 0
		.amdhsa_uses_dynamic_stack 0
		.amdhsa_system_sgpr_private_segment_wavefront_offset 0
		.amdhsa_system_sgpr_workgroup_id_x 1
		.amdhsa_system_sgpr_workgroup_id_y 0
		.amdhsa_system_sgpr_workgroup_id_z 0
		.amdhsa_system_sgpr_workgroup_info 0
		.amdhsa_system_vgpr_workitem_id 0
		.amdhsa_next_free_vgpr 25
		.amdhsa_next_free_sgpr 58
		.amdhsa_reserve_vcc 1
		.amdhsa_reserve_flat_scratch 0
		.amdhsa_float_round_mode_32 0
		.amdhsa_float_round_mode_16_64 0
		.amdhsa_float_denorm_mode_32 3
		.amdhsa_float_denorm_mode_16_64 3
		.amdhsa_dx10_clamp 1
		.amdhsa_ieee_mode 1
		.amdhsa_fp16_overflow 0
		.amdhsa_exception_fp_ieee_invalid_op 0
		.amdhsa_exception_fp_denorm_src 0
		.amdhsa_exception_fp_ieee_div_zero 0
		.amdhsa_exception_fp_ieee_overflow 0
		.amdhsa_exception_fp_ieee_underflow 0
		.amdhsa_exception_fp_ieee_inexact 0
		.amdhsa_exception_int_div_zero 0
	.end_amdhsa_kernel
	.text
.Lfunc_end22:
	.size	naive_conv_ab_packed_fwd_nhwc_int8_t_int32_t_float, .Lfunc_end22-naive_conv_ab_packed_fwd_nhwc_int8_t_int32_t_float
                                        ; -- End function
	.set naive_conv_ab_packed_fwd_nhwc_int8_t_int32_t_float.num_vgpr, 25
	.set naive_conv_ab_packed_fwd_nhwc_int8_t_int32_t_float.num_agpr, 0
	.set naive_conv_ab_packed_fwd_nhwc_int8_t_int32_t_float.numbered_sgpr, 58
	.set naive_conv_ab_packed_fwd_nhwc_int8_t_int32_t_float.num_named_barrier, 0
	.set naive_conv_ab_packed_fwd_nhwc_int8_t_int32_t_float.private_seg_size, 0
	.set naive_conv_ab_packed_fwd_nhwc_int8_t_int32_t_float.uses_vcc, 1
	.set naive_conv_ab_packed_fwd_nhwc_int8_t_int32_t_float.uses_flat_scratch, 0
	.set naive_conv_ab_packed_fwd_nhwc_int8_t_int32_t_float.has_dyn_sized_stack, 0
	.set naive_conv_ab_packed_fwd_nhwc_int8_t_int32_t_float.has_recursion, 0
	.set naive_conv_ab_packed_fwd_nhwc_int8_t_int32_t_float.has_indirect_call, 0
	.section	.AMDGPU.csdata,"",@progbits
; Kernel info:
; codeLenInByte = 1368
; TotalNumSgprs: 62
; NumVgprs: 25
; ScratchSize: 0
; MemoryBound: 0
; FloatMode: 240
; IeeeMode: 1
; LDSByteSize: 0 bytes/workgroup (compile time only)
; SGPRBlocks: 7
; VGPRBlocks: 6
; NumSGPRsForWavesPerEU: 62
; NumVGPRsForWavesPerEU: 25
; Occupancy: 9
; WaveLimiterHint : 0
; COMPUTE_PGM_RSRC2:SCRATCH_EN: 0
; COMPUTE_PGM_RSRC2:USER_SGPR: 6
; COMPUTE_PGM_RSRC2:TRAP_HANDLER: 0
; COMPUTE_PGM_RSRC2:TGID_X_EN: 1
; COMPUTE_PGM_RSRC2:TGID_Y_EN: 0
; COMPUTE_PGM_RSRC2:TGID_Z_EN: 0
; COMPUTE_PGM_RSRC2:TIDIG_COMP_CNT: 0
	.text
	.protected	naive_conv_ab_nonpacked_fwd_nhwc_int8_t_int32_t_float ; -- Begin function naive_conv_ab_nonpacked_fwd_nhwc_int8_t_int32_t_float
	.globl	naive_conv_ab_nonpacked_fwd_nhwc_int8_t_int32_t_float
	.p2align	8
	.type	naive_conv_ab_nonpacked_fwd_nhwc_int8_t_int32_t_float,@function
naive_conv_ab_nonpacked_fwd_nhwc_int8_t_int32_t_float: ; @naive_conv_ab_nonpacked_fwd_nhwc_int8_t_int32_t_float
; %bb.0:
	s_load_dwordx16 s[8:23], s[4:5], 0xa0
	s_abs_i32 s1, s6
	s_waitcnt lgkmcnt(0)
	s_abs_i32 s0, s13
	v_cvt_f32_u32_e32 v1, s0
	s_sub_i32 s2, 0, s0
	v_rcp_iflag_f32_e32 v1, v1
	v_mul_f32_e32 v1, 0x4f7ffffe, v1
	v_cvt_u32_f32_e32 v1, v1
	v_readfirstlane_b32 s3, v1
	s_mul_i32 s2, s2, s3
	s_mul_hi_u32 s2, s3, s2
	s_add_i32 s3, s3, s2
	s_mul_hi_u32 s2, s1, s3
	s_mul_i32 s3, s2, s0
	s_sub_i32 s1, s1, s3
	s_add_i32 s7, s2, 1
	s_sub_i32 s3, s1, s0
	s_cmp_ge_u32 s1, s0
	s_cselect_b32 s2, s7, s2
	s_cselect_b32 s1, s3, s1
	s_add_i32 s3, s2, 1
	s_cmp_ge_u32 s1, s0
	s_cselect_b32 s1, s3, s2
	s_abs_i32 s0, s10
	v_cvt_f32_u32_e32 v1, s0
	s_mul_i32 s10, s23, s11
	s_mul_i32 s23, s10, s14
	v_cmp_gt_i32_e32 vcc, s23, v0
	v_rcp_iflag_f32_e32 v1, v1
	v_mul_f32_e32 v1, 0x4f7ffffe, v1
	v_cvt_u32_f32_e32 v1, v1
	v_readfirstlane_b32 s2, v1
	s_and_saveexec_b64 s[24:25], vcc
	s_cbranch_execz .LBB23_18
; %bb.1:
	s_xor_b32 s3, s6, s13
	s_ashr_i32 s3, s3, 31
	s_xor_b32 s1, s1, s3
	s_sub_i32 s1, s1, s3
	s_sub_i32 s3, 0, s0
	s_mul_i32 s3, s3, s2
	s_mul_hi_u32 s3, s2, s3
	s_abs_i32 s14, s1
	s_add_i32 s2, s2, s3
	s_mul_hi_u32 s33, s14, s2
	s_ashr_i32 s7, s1, 31
	s_mul_i32 s1, s1, s13
	s_mul_i32 s33, s33, s0
	s_sub_i32 s6, s6, s1
	s_sub_i32 s1, s14, s33
	;; [unrolled: 1-line block ×3, first 2 shown]
	s_cmp_ge_u32 s1, s0
	s_cselect_b32 s1, s13, s1
	s_sub_i32 s13, s1, s0
	s_cmp_ge_u32 s1, s0
	s_cselect_b32 s0, s13, s1
	s_load_dwordx8 s[24:31], s[4:5], 0x0
	s_load_dwordx2 s[34:35], s[4:5], 0x20
	s_load_dwordx16 s[36:51], s[4:5], 0x28
	s_load_dwordx2 s[2:3], s[4:5], 0x98
	s_load_dwordx4 s[60:63], s[4:5], 0x88
	s_xor_b32 s0, s0, s7
	s_sub_i32 s52, s0, s7
	s_ashr_i32 s0, s52, 31
	s_waitcnt lgkmcnt(0)
	s_mul_i32 s1, s44, s0
	s_mul_hi_u32 s7, s44, s52
	s_add_i32 s1, s7, s1
	s_mul_i32 s7, s45, s52
	s_add_i32 s53, s1, s7
	s_mul_i32 s0, s2, s0
	s_mul_hi_u32 s1, s2, s52
	s_add_i32 s0, s1, s0
	s_mul_i32 s1, s3, s52
	s_add_i32 s1, s0, s1
	s_mul_i32 s0, s2, s52
	s_ashr_i32 s2, s6, 31
	s_mul_i32 s2, s62, s2
	s_mul_hi_u32 s3, s62, s6
	s_add_i32 s2, s3, s2
	s_mul_i32 s3, s63, s6
	s_add_i32 s3, s2, s3
	s_lshl_b64 s[0:1], s[0:1], 2
	s_mul_i32 s2, s62, s6
	s_add_u32 s7, s34, s0
	s_addc_u32 s14, s35, s1
	s_lshl_b64 s[0:1], s[2:3], 2
	s_add_u32 s13, s7, s0
	s_addc_u32 s33, s14, s1
	s_cmp_lt_i32 s21, 1
	s_mul_i32 s6, s6, s15
	s_cselect_b64 s[2:3], -1, 0
	s_sub_i32 s19, s6, s19
	s_cmp_gt_i32 s22, 0
	s_cselect_b64 s[6:7], -1, 0
	s_cmp_gt_i32 s12, 0
	s_cselect_b64 s[14:15], -1, 0
	s_abs_i32 s45, s10
	v_cvt_f32_u32_e32 v1, s45
	s_abs_i32 s62, s11
	v_cvt_f32_u32_e32 v3, s62
	v_cmp_neq_f64_e64 s[0:1], s[28:29], 1.0
	v_cmp_neq_f64_e64 s[34:35], s[30:31], 0
	v_rcp_iflag_f32_e32 v1, v1
	v_rcp_iflag_f32_e32 v3, v3
	s_ashr_i32 s63, s10, 31
	s_ashr_i32 s64, s11, 31
	v_mul_f32_e32 v1, 0x4f7ffffe, v1
	v_cvt_u32_f32_e32 v1, v1
	v_mul_f32_e32 v3, 0x4f7ffffe, v3
	v_cvt_u32_f32_e32 v3, v3
	s_or_b64 s[34:35], s[0:1], s[34:35]
	s_load_dword s1, s[4:5], 0xec
	s_sub_i32 s0, 0, s45
	v_mul_lo_u32 v2, s0, v1
	s_sub_i32 s0, 0, s62
	v_mul_lo_u32 v4, s0, v3
	s_mul_i32 s0, s44, s52
	s_waitcnt lgkmcnt(0)
	s_and_b32 s44, s1, 0xffff
	s_add_u32 s24, s24, s0
	s_addc_u32 s25, s25, s53
	v_mul_hi_u32 v2, v1, v2
	v_mul_hi_u32 v4, v3, v4
	s_load_dwordx8 s[52:59], s[4:5], 0x68
	v_cvt_i32_f64_e32 v14, s[28:29]
	v_cvt_i32_f64_e32 v15, s[30:31]
	v_add_u32_e32 v16, v1, v2
	v_add_u32_e32 v17, v3, v4
	s_mov_b64 s[28:29], 0
	s_branch .LBB23_3
.LBB23_2:                               ;   in Loop: Header=BB23_3 Depth=1
	v_cvt_f32_i32_e32 v1, v1
	v_add_u32_e32 v0, s44, v0
	v_cmp_le_i32_e32 vcc, s23, v0
	s_or_b64 s[28:29], vcc, s[28:29]
	global_store_dword v[3:4], v1, off
	s_andn2_b64 exec, exec, s[28:29]
	s_cbranch_execz .LBB23_18
.LBB23_3:                               ; =>This Loop Header: Depth=1
                                        ;     Child Loop BB23_8 Depth 2
                                        ;       Child Loop BB23_11 Depth 3
                                        ;         Child Loop BB23_14 Depth 4
	v_sub_u32_e32 v1, 0, v0
	v_max_i32_e32 v1, v0, v1
	v_mul_hi_u32 v2, v1, v16
	v_ashrrev_i32_e32 v4, 31, v0
	v_xor_b32_e32 v4, s63, v4
	s_mov_b64 s[0:1], -1
	v_mul_lo_u32 v3, v2, s45
	v_add_u32_e32 v5, 1, v2
	v_sub_u32_e32 v1, v1, v3
	v_cmp_le_u32_e32 vcc, s45, v1
	v_subrev_u32_e32 v3, s45, v1
	v_cndmask_b32_e32 v2, v2, v5, vcc
	v_cndmask_b32_e32 v1, v1, v3, vcc
	v_add_u32_e32 v3, 1, v2
	v_cmp_le_u32_e32 vcc, s45, v1
	v_cndmask_b32_e32 v1, v2, v3, vcc
	v_xor_b32_e32 v1, v1, v4
	v_sub_u32_e32 v18, v1, v4
	v_mul_lo_u32 v1, v18, s10
	v_sub_u32_e32 v2, v0, v1
	v_sub_u32_e32 v1, 0, v2
	v_max_i32_e32 v1, v2, v1
	v_mul_hi_u32 v4, v1, v17
	v_ashrrev_i32_e32 v3, 31, v2
	v_xor_b32_e32 v6, s64, v3
	v_mul_lo_u32 v5, v4, s62
	v_add_u32_e32 v7, 1, v4
	v_sub_u32_e32 v1, v1, v5
	v_cmp_le_u32_e32 vcc, s62, v1
	v_subrev_u32_e32 v5, s62, v1
	v_cndmask_b32_e32 v4, v4, v7, vcc
	v_cndmask_b32_e32 v1, v1, v5, vcc
	v_add_u32_e32 v5, 1, v4
	v_cmp_le_u32_e32 vcc, s62, v1
	v_cndmask_b32_e32 v1, v4, v5, vcc
	v_xor_b32_e32 v1, v1, v6
	v_sub_u32_e32 v20, v1, v6
	v_mul_lo_u32 v4, v20, s11
	s_andn2_b64 vcc, exec, s[2:3]
	v_ashrrev_i32_e32 v22, 31, v20
	v_sub_u32_e32 v19, v2, v4
	v_ashrrev_i32_e32 v21, 31, v19
	s_cbranch_vccnz .LBB23_5
; %bb.4:                                ;   in Loop: Header=BB23_3 Depth=1
	s_mov_b64 s[0:1], 0
.LBB23_5:                               ;   in Loop: Header=BB23_3 Depth=1
	s_andn2_b64 vcc, exec, s[0:1]
	v_mov_b32_e32 v1, 0
	s_cbranch_vccnz .LBB23_16
; %bb.6:                                ;   in Loop: Header=BB23_3 Depth=1
	s_waitcnt lgkmcnt(0)
	v_mul_lo_u32 v1, s55, v20
	v_mul_lo_u32 v7, s54, v22
	v_mad_u64_u32 v[5:6], s[0:1], s54, v20, 0
	v_mul_lo_u32 v8, v18, s16
	s_mov_b32 s65, 0
	v_add3_u32 v6, v6, v7, v1
	v_ashrrev_i32_e32 v1, 31, v4
	v_sub_co_u32_e32 v4, vcc, v2, v4
	v_subb_co_u32_e32 v3, vcc, v3, v1, vcc
	v_mad_u64_u32 v[1:2], s[0:1], s52, v4, v[5:6]
	v_mul_lo_u32 v3, s52, v3
	v_mul_lo_u32 v4, s53, v4
	v_subrev_u32_e32 v23, s20, v8
	v_mul_lo_u32 v7, s39, v20
	v_mul_lo_u32 v8, s38, v22
	v_add3_u32 v5, v4, v2, v3
	v_mov_b32_e32 v2, s24
	v_mov_b32_e32 v3, s25
	v_mad_u64_u32 v[2:3], s[0:1], s38, v20, v[2:3]
	v_mov_b32_e32 v6, s27
	v_add_co_u32_e32 v4, vcc, s26, v1
	v_addc_co_u32_e32 v5, vcc, v6, v5, vcc
	v_add3_u32 v3, v7, v3, v8
	v_mov_b32_e32 v1, 0
	s_mov_b32 s66, s19
	s_branch .LBB23_8
.LBB23_7:                               ;   in Loop: Header=BB23_8 Depth=2
	s_add_i32 s65, s65, 1
	v_mov_b32_e32 v6, s51
	s_add_i32 s66, s66, s17
	v_add_co_u32_e32 v4, vcc, s50, v4
	s_cmp_eq_u32 s65, s21
	v_addc_co_u32_e32 v5, vcc, v5, v6, vcc
	s_cbranch_scc1 .LBB23_16
.LBB23_8:                               ;   Parent Loop BB23_3 Depth=1
                                        ; =>  This Loop Header: Depth=2
                                        ;       Child Loop BB23_11 Depth 3
                                        ;         Child Loop BB23_14 Depth 4
	s_andn2_b64 vcc, exec, s[6:7]
	s_cbranch_vccnz .LBB23_7
; %bb.9:                                ;   in Loop: Header=BB23_8 Depth=2
	s_mul_i32 s0, s65, s17
	s_add_i32 s4, s0, s19
	s_cmp_lt_i32 s4, 0
	v_mov_b32_e32 v6, s66
	s_cselect_b64 s[0:1], -1, 0
	s_cmp_ge_i32 s4, s8
	v_mad_u64_u32 v[6:7], s[4:5], s42, v6, v[2:3]
	s_cselect_b64 s[4:5], -1, 0
	s_or_b64 s[4:5], s[0:1], s[4:5]
	s_mul_i32 s0, s43, s66
	v_mov_b32_e32 v9, v5
	s_mov_b32 s67, 0
	v_add_u32_e32 v7, s0, v7
	v_mov_b32_e32 v24, v23
	v_mov_b32_e32 v8, v4
	s_branch .LBB23_11
.LBB23_10:                              ;   in Loop: Header=BB23_11 Depth=3
	s_add_i32 s67, s67, 1
	v_mov_b32_e32 v10, s49
	v_add_co_u32_e32 v8, vcc, s48, v8
	v_addc_co_u32_e32 v9, vcc, v9, v10, vcc
	s_cmp_eq_u32 s67, s22
	v_add_u32_e32 v24, s18, v24
	s_cbranch_scc1 .LBB23_7
.LBB23_11:                              ;   Parent Loop BB23_3 Depth=1
                                        ;     Parent Loop BB23_8 Depth=2
                                        ; =>    This Loop Header: Depth=3
                                        ;         Child Loop BB23_14 Depth 4
	s_andn2_b64 vcc, exec, s[14:15]
	s_cbranch_vccnz .LBB23_10
; %bb.12:                               ;   in Loop: Header=BB23_11 Depth=3
	v_mad_u64_u32 v[10:11], s[0:1], s40, v24, v[6:7]
	s_mul_i32 s30, s67, s18
	s_mov_b32 s68, s12
	v_mad_u64_u32 v[11:12], s[0:1], s41, v24, v[11:12]
	v_add_u32_e32 v12, s30, v23
	v_cmp_gt_i32_e32 vcc, 0, v12
	v_cmp_le_i32_e64 s[0:1], s9, v12
	s_or_b64 s[0:1], vcc, s[0:1]
	v_mov_b32_e32 v13, v9
	s_nor_b64 s[0:1], s[4:5], s[0:1]
	v_mov_b32_e32 v12, v8
	s_branch .LBB23_14
.LBB23_13:                              ;   in Loop: Header=BB23_14 Depth=4
	s_or_b64 exec, exec, s[30:31]
	v_mov_b32_e32 v25, s47
	v_add_co_u32_e32 v12, vcc, s46, v12
	v_addc_co_u32_e32 v13, vcc, v13, v25, vcc
	s_add_i32 s68, s68, -1
	v_mov_b32_e32 v25, s37
	v_add_co_u32_e32 v10, vcc, s36, v10
	s_cmp_eq_u32 s68, 0
	v_addc_co_u32_e32 v11, vcc, v11, v25, vcc
	s_cbranch_scc1 .LBB23_10
.LBB23_14:                              ;   Parent Loop BB23_3 Depth=1
                                        ;     Parent Loop BB23_8 Depth=2
                                        ;       Parent Loop BB23_11 Depth=3
                                        ; =>      This Inner Loop Header: Depth=4
	s_and_saveexec_b64 s[30:31], s[0:1]
	s_cbranch_execz .LBB23_13
; %bb.15:                               ;   in Loop: Header=BB23_14 Depth=4
	global_load_sbyte v25, v[10:11], off
	global_load_sbyte v26, v[12:13], off
	s_waitcnt vmcnt(0)
	v_mad_i32_i24 v1, v26, v25, v1
	s_branch .LBB23_13
.LBB23_16:                              ;   in Loop: Header=BB23_3 Depth=1
	s_waitcnt lgkmcnt(0)
	v_mul_lo_u32 v10, v22, s58
	v_mul_lo_u32 v11, v20, s59
	v_mad_u64_u32 v[4:5], s[0:1], v20, s58, 0
	v_ashrrev_i32_e32 v2, 31, v18
	v_mul_lo_u32 v8, s61, v18
	v_mul_lo_u32 v9, s60, v2
	v_mad_u64_u32 v[2:3], s[0:1], s60, v18, 0
	v_add3_u32 v5, v5, v11, v10
	v_mul_lo_u32 v12, v21, s56
	v_mul_lo_u32 v13, v19, s57
	v_mad_u64_u32 v[6:7], s[0:1], v19, s56, 0
	v_lshlrev_b64 v[4:5], 2, v[4:5]
	v_add3_u32 v3, v3, v9, v8
	v_mov_b32_e32 v8, s33
	v_add_co_u32_e32 v4, vcc, s13, v4
	v_lshlrev_b64 v[2:3], 2, v[2:3]
	v_addc_co_u32_e32 v5, vcc, v8, v5, vcc
	v_add3_u32 v7, v7, v13, v12
	v_add_co_u32_e32 v2, vcc, v4, v2
	v_addc_co_u32_e32 v5, vcc, v5, v3, vcc
	v_lshlrev_b64 v[3:4], 2, v[6:7]
	s_andn2_b64 vcc, exec, s[34:35]
	v_add_co_u32_e64 v3, s[0:1], v2, v3
	v_addc_co_u32_e64 v4, s[0:1], v5, v4, s[0:1]
	s_cbranch_vccnz .LBB23_2
; %bb.17:                               ;   in Loop: Header=BB23_3 Depth=1
	global_load_dword v2, v[3:4], off
	v_mul_lo_u32 v1, v1, v14
	s_waitcnt vmcnt(0)
	v_cvt_i32_f32_e32 v2, v2
	v_mad_u64_u32 v[1:2], s[0:1], v2, v15, v[1:2]
	s_branch .LBB23_2
.LBB23_18:
	s_endpgm
	.section	.rodata,"a",@progbits
	.p2align	6, 0x0
	.amdhsa_kernel naive_conv_ab_nonpacked_fwd_nhwc_int8_t_int32_t_float
		.amdhsa_group_segment_fixed_size 0
		.amdhsa_private_segment_fixed_size 0
		.amdhsa_kernarg_size 480
		.amdhsa_user_sgpr_count 6
		.amdhsa_user_sgpr_private_segment_buffer 1
		.amdhsa_user_sgpr_dispatch_ptr 0
		.amdhsa_user_sgpr_queue_ptr 0
		.amdhsa_user_sgpr_kernarg_segment_ptr 1
		.amdhsa_user_sgpr_dispatch_id 0
		.amdhsa_user_sgpr_flat_scratch_init 0
		.amdhsa_user_sgpr_private_segment_size 0
		.amdhsa_uses_dynamic_stack 0
		.amdhsa_system_sgpr_private_segment_wavefront_offset 0
		.amdhsa_system_sgpr_workgroup_id_x 1
		.amdhsa_system_sgpr_workgroup_id_y 0
		.amdhsa_system_sgpr_workgroup_id_z 0
		.amdhsa_system_sgpr_workgroup_info 0
		.amdhsa_system_vgpr_workitem_id 0
		.amdhsa_next_free_vgpr 27
		.amdhsa_next_free_sgpr 69
		.amdhsa_reserve_vcc 1
		.amdhsa_reserve_flat_scratch 0
		.amdhsa_float_round_mode_32 0
		.amdhsa_float_round_mode_16_64 0
		.amdhsa_float_denorm_mode_32 3
		.amdhsa_float_denorm_mode_16_64 3
		.amdhsa_dx10_clamp 1
		.amdhsa_ieee_mode 1
		.amdhsa_fp16_overflow 0
		.amdhsa_exception_fp_ieee_invalid_op 0
		.amdhsa_exception_fp_denorm_src 0
		.amdhsa_exception_fp_ieee_div_zero 0
		.amdhsa_exception_fp_ieee_overflow 0
		.amdhsa_exception_fp_ieee_underflow 0
		.amdhsa_exception_fp_ieee_inexact 0
		.amdhsa_exception_int_div_zero 0
	.end_amdhsa_kernel
	.text
.Lfunc_end23:
	.size	naive_conv_ab_nonpacked_fwd_nhwc_int8_t_int32_t_float, .Lfunc_end23-naive_conv_ab_nonpacked_fwd_nhwc_int8_t_int32_t_float
                                        ; -- End function
	.set naive_conv_ab_nonpacked_fwd_nhwc_int8_t_int32_t_float.num_vgpr, 27
	.set naive_conv_ab_nonpacked_fwd_nhwc_int8_t_int32_t_float.num_agpr, 0
	.set naive_conv_ab_nonpacked_fwd_nhwc_int8_t_int32_t_float.numbered_sgpr, 69
	.set naive_conv_ab_nonpacked_fwd_nhwc_int8_t_int32_t_float.num_named_barrier, 0
	.set naive_conv_ab_nonpacked_fwd_nhwc_int8_t_int32_t_float.private_seg_size, 0
	.set naive_conv_ab_nonpacked_fwd_nhwc_int8_t_int32_t_float.uses_vcc, 1
	.set naive_conv_ab_nonpacked_fwd_nhwc_int8_t_int32_t_float.uses_flat_scratch, 0
	.set naive_conv_ab_nonpacked_fwd_nhwc_int8_t_int32_t_float.has_dyn_sized_stack, 0
	.set naive_conv_ab_nonpacked_fwd_nhwc_int8_t_int32_t_float.has_recursion, 0
	.set naive_conv_ab_nonpacked_fwd_nhwc_int8_t_int32_t_float.has_indirect_call, 0
	.section	.AMDGPU.csdata,"",@progbits
; Kernel info:
; codeLenInByte = 1496
; TotalNumSgprs: 73
; NumVgprs: 27
; ScratchSize: 0
; MemoryBound: 0
; FloatMode: 240
; IeeeMode: 1
; LDSByteSize: 0 bytes/workgroup (compile time only)
; SGPRBlocks: 9
; VGPRBlocks: 6
; NumSGPRsForWavesPerEU: 73
; NumVGPRsForWavesPerEU: 27
; Occupancy: 9
; WaveLimiterHint : 0
; COMPUTE_PGM_RSRC2:SCRATCH_EN: 0
; COMPUTE_PGM_RSRC2:USER_SGPR: 6
; COMPUTE_PGM_RSRC2:TRAP_HANDLER: 0
; COMPUTE_PGM_RSRC2:TGID_X_EN: 1
; COMPUTE_PGM_RSRC2:TGID_Y_EN: 0
; COMPUTE_PGM_RSRC2:TGID_Z_EN: 0
; COMPUTE_PGM_RSRC2:TIDIG_COMP_CNT: 0
	.text
	.protected	naive_conv_ab_packed_bwd_nchw_float_double_float ; -- Begin function naive_conv_ab_packed_bwd_nchw_float_double_float
	.globl	naive_conv_ab_packed_bwd_nchw_float_double_float
	.p2align	8
	.type	naive_conv_ab_packed_bwd_nchw_float_double_float,@function
naive_conv_ab_packed_bwd_nchw_float_double_float: ; @naive_conv_ab_packed_bwd_nchw_float_double_float
; %bb.0:
	s_load_dwordx16 s[8:23], s[4:5], 0xa0
	s_abs_i32 s2, s6
	s_waitcnt lgkmcnt(0)
	s_abs_i32 s0, s12
	v_cvt_f32_u32_e32 v1, s0
	s_sub_i32 s1, 0, s0
	s_mul_i32 s33, s12, s10
	v_rcp_iflag_f32_e32 v1, v1
	v_mul_f32_e32 v1, 0x4f7ffffe, v1
	v_cvt_u32_f32_e32 v1, v1
	v_readfirstlane_b32 s3, v1
	s_mul_i32 s1, s1, s3
	s_mul_hi_u32 s1, s3, s1
	s_add_i32 s3, s3, s1
	s_mul_hi_u32 s1, s2, s3
	s_mul_i32 s3, s1, s0
	s_sub_i32 s3, s2, s3
	s_add_i32 s7, s1, 1
	s_sub_i32 s24, s3, s0
	s_cmp_ge_u32 s3, s0
	s_cselect_b32 s1, s7, s1
	s_cselect_b32 s3, s24, s3
	s_add_i32 s7, s1, 1
	s_cmp_ge_u32 s3, s0
	s_cselect_b32 s35, s7, s1
	s_abs_i32 s7, s10
	s_abs_i32 s3, s33
	v_cvt_f32_u32_e32 v1, s7
	v_cvt_f32_u32_e32 v2, s3
	s_mul_i32 s10, s9, s8
	v_cmp_gt_i32_e32 vcc, s10, v0
	v_rcp_iflag_f32_e32 v1, v1
	v_rcp_iflag_f32_e32 v2, v2
	v_mul_f32_e32 v1, 0x4f7ffffe, v1
	v_mul_f32_e32 v2, 0x4f7ffffe, v2
	v_cvt_u32_f32_e32 v1, v1
	v_cvt_u32_f32_e32 v2, v2
	v_readfirstlane_b32 s37, v1
	v_readfirstlane_b32 s36, v2
	s_and_saveexec_b64 s[0:1], vcc
	s_cbranch_execz .LBB24_29
; %bb.1:
	s_ashr_i32 s38, s6, 31
	s_ashr_i32 s34, s12, 31
	s_xor_b32 s39, s38, s34
	s_sub_i32 s41, 0, s7
	s_xor_b32 s35, s35, s39
	s_mul_i32 s41, s41, s37
	s_sub_i32 s35, s35, s39
	s_mul_hi_u32 s41, s37, s41
	s_abs_i32 s40, s35
	s_add_i32 s37, s37, s41
	s_mul_hi_u32 s37, s40, s37
	s_sub_i32 s41, 0, s3
	s_ashr_i32 s39, s35, 31
	s_mul_i32 s41, s41, s36
	s_mul_i32 s35, s35, s12
	;; [unrolled: 1-line block ×3, first 2 shown]
	s_mul_hi_u32 s41, s36, s41
	s_sub_i32 s35, s6, s35
	s_sub_i32 s6, s40, s37
	s_ashr_i32 s33, s33, 31
	s_add_i32 s36, s36, s41
	s_sub_i32 s37, s6, s7
	s_cmp_ge_u32 s6, s7
	s_cselect_b32 s6, s37, s6
	s_sub_i32 s37, s6, s7
	s_mul_hi_u32 s36, s2, s36
	s_cmp_ge_u32 s6, s7
	s_cselect_b32 s6, s37, s6
	s_xor_b32 s7, s38, s33
	s_mul_i32 s33, s36, s3
	s_xor_b32 s6, s6, s39
	s_sub_i32 s2, s2, s33
	s_sub_i32 s6, s6, s39
	s_add_i32 s33, s36, 1
	s_sub_i32 s37, s2, s3
	s_cmp_ge_u32 s2, s3
	s_cselect_b32 s33, s33, s36
	s_cselect_b32 s2, s37, s2
	s_add_i32 s36, s33, 1
	s_cmp_ge_u32 s2, s3
	s_cselect_b32 s2, s36, s33
	s_mul_i32 s41, s23, s11
	s_mul_i32 s23, s23, s12
	s_xor_b32 s2, s2, s7
	s_sub_i32 s7, s2, s7
	s_mul_i32 s3, s6, s23
	s_ashr_i32 s33, s9, 31
	s_ashr_i32 s37, s35, 31
	s_mul_hi_i32 s2, s6, s23
	s_add_u32 s3, s3, s35
	s_mul_i32 s36, s7, s12
	s_addc_u32 s2, s2, s37
	s_mul_hi_i32 s23, s7, s12
	s_add_u32 s36, s3, s36
	s_addc_u32 s2, s2, s23
	s_load_dwordx8 s[24:31], s[4:5], 0x0
	s_load_dwordx2 s[0:1], s[4:5], 0x20
	s_mul_hi_i32 s3, s9, s8
	s_mul_i32 s2, s10, s2
	s_mul_hi_u32 s8, s10, s36
	s_add_i32 s2, s8, s2
	s_mul_i32 s3, s3, s36
	s_add_i32 s3, s2, s3
	s_mul_i32 s2, s10, s36
	s_lshl_b64 s[2:3], s[2:3], 2
	s_waitcnt lgkmcnt(0)
	s_add_u32 s43, s24, s2
	s_addc_u32 s44, s25, s3
	s_mul_i32 s3, s7, s11
	s_mul_hi_i32 s2, s7, s11
	s_mul_i32 s7, s3, s34
	s_mul_hi_u32 s8, s3, s12
	s_add_i32 s7, s8, s7
	s_mul_i32 s8, s2, s12
	s_add_i32 s36, s7, s8
	s_ashr_i32 s23, s22, 31
	s_mul_hi_i32 s7, s6, s41
	s_mul_i32 s6, s6, s41
	s_ashr_i32 s45, s13, 31
	s_ashr_i32 s46, s14, 31
	s_add_u32 s6, s3, s6
	s_addc_u32 s2, s2, s7
	s_mul_i32 s7, s14, s13
	s_mul_i32 s38, s3, s12
	s_mul_hi_i32 s3, s14, s13
	s_mul_i32 s2, s7, s2
	s_mul_hi_u32 s8, s7, s6
	s_add_i32 s2, s8, s2
	s_mul_i32 s3, s3, s6
	s_add_i32 s3, s2, s3
	s_mul_i32 s2, s7, s6
	s_lshl_b64 s[2:3], s[2:3], 2
	s_add_u32 s47, s0, s2
	s_addc_u32 s48, s1, s3
	s_cmp_gt_i32 s11, 0
	s_cselect_b64 s[2:3], -1, 0
	s_cmp_gt_i32 s21, 0
	s_load_dword s39, s[4:5], 0xec
	s_cselect_b64 s[4:5], -1, 0
	s_cmp_gt_i32 s22, 0
	s_cselect_b64 s[6:7], -1, 0
	s_abs_i32 s49, s9
	v_cvt_f32_u32_e32 v1, s49
	s_abs_i32 s53, s15
	v_cvt_f32_u32_e32 v2, s53
	;; [unrolled: 2-line block ×3, first 2 shown]
	v_rcp_iflag_f32_e32 v1, v1
	v_cmp_neq_f64_e64 s[0:1], s[28:29], 1.0
	v_cmp_neq_f64_e64 s[24:25], s[30:31], 0
	v_rcp_iflag_f32_e32 v2, v2
	v_rcp_iflag_f32_e32 v3, v3
	v_mul_f32_e32 v1, 0x4f7ffffe, v1
	v_cvt_u32_f32_e32 v1, v1
	v_mul_f32_e32 v2, 0x4f7ffffe, v2
	v_cvt_u32_f32_e32 v2, v2
	;; [unrolled: 2-line block ×3, first 2 shown]
	s_mov_b32 s51, s13
	s_sub_i32 s13, 0, s49
	v_mul_lo_u32 v4, s13, v1
	s_or_b64 s[24:25], s[0:1], s[24:25]
	s_sub_i32 s0, 0, s53
	v_mul_lo_u32 v5, s0, v2
	s_sub_i32 s0, 0, s54
	s_waitcnt lgkmcnt(0)
	s_and_b32 s55, s39, 0xffff
	s_ashr_i32 s56, s15, 31
	s_ashr_i32 s16, s16, 31
	v_mul_lo_u32 v7, s0, v3
	s_add_u32 s0, s38, s35
	s_addc_u32 s1, s36, s37
	s_mul_i32 s13, s22, s21
	s_mov_b32 s50, s21
	s_mov_b32 s52, s14
	v_mul_hi_u32 v4, v1, v4
	s_mul_i32 s1, s13, s1
	s_mul_hi_u32 s14, s13, s0
	s_mul_hi_i32 s21, s22, s21
	s_add_i32 s1, s14, s1
	s_mul_i32 s14, s21, s0
	s_add_i32 s1, s1, s14
	s_mul_i32 s0, s13, s0
	s_lshl_b64 s[0:1], s[0:1], 2
	v_mul_hi_u32 v5, v2, v5
	v_add_u32_e32 v6, v1, v4
	v_mul_hi_u32 v1, v3, v7
	s_add_u32 s14, s26, s0
	s_addc_u32 s15, s27, s1
	s_mul_i32 s0, s13, s34
	s_mul_hi_u32 s1, s13, s12
	s_add_i32 s0, s1, s0
	s_mul_i32 s21, s21, s12
	s_add_i32 s1, s0, s21
	s_mul_i32 s0, s13, s12
	s_mov_b32 s42, s9
	s_mov_b64 s[8:9], 0
	v_add_u32_e32 v7, v2, v5
	v_add_u32_e32 v8, v3, v1
	s_lshl_b64 s[12:13], s[0:1], 2
	s_lshl_b64 s[26:27], s[22:23], 2
	s_branch .LBB24_3
.LBB24_2:                               ;   in Loop: Header=BB24_3 Depth=1
	v_cvt_f32_f64_e32 v1, v[1:2]
	v_add_u32_e32 v0, s55, v0
	v_cmp_le_i32_e32 vcc, s10, v0
	s_or_b64 s[8:9], vcc, s[8:9]
	global_store_dword v[3:4], v1, off
	s_andn2_b64 exec, exec, s[8:9]
	s_cbranch_execz .LBB24_29
.LBB24_3:                               ; =>This Loop Header: Depth=1
                                        ;     Child Loop BB24_6 Depth 2
                                        ;       Child Loop BB24_9 Depth 3
                                        ;         Child Loop BB24_18 Depth 4
	v_sub_u32_e32 v1, 0, v0
	v_max_i32_e32 v1, v0, v1
	v_mul_hi_u32 v2, v1, v6
	v_ashrrev_i32_e32 v4, 31, v0
	v_xor_b32_e32 v4, s33, v4
	v_mul_lo_u32 v3, v2, s49
	v_add_u32_e32 v5, 1, v2
	v_sub_u32_e32 v1, v1, v3
	v_cmp_le_u32_e32 vcc, s49, v1
	v_subrev_u32_e32 v3, s49, v1
	v_cndmask_b32_e32 v2, v2, v5, vcc
	v_cndmask_b32_e32 v1, v1, v3, vcc
	v_add_u32_e32 v3, 1, v2
	v_cmp_le_u32_e32 vcc, s49, v1
	v_cndmask_b32_e32 v1, v2, v3, vcc
	v_xor_b32_e32 v1, v1, v4
	v_sub_u32_e32 v9, v1, v4
	v_mul_lo_u32 v1, v9, s42
	s_andn2_b64 vcc, exec, s[2:3]
	v_sub_u32_e32 v3, v0, v1
	s_cbranch_vccnz .LBB24_26
; %bb.4:                                ;   in Loop: Header=BB24_3 Depth=1
	v_mov_b32_e32 v1, 0
	v_add_u32_e32 v10, s19, v9
	v_add_u32_e32 v11, s20, v3
	v_mov_b32_e32 v2, 0
	s_mov_b32 s21, 0
	s_mov_b64 s[0:1], s[14:15]
	s_branch .LBB24_6
.LBB24_5:                               ;   in Loop: Header=BB24_6 Depth=2
	s_add_i32 s21, s21, 1
	s_add_u32 s0, s0, s12
	s_addc_u32 s1, s1, s13
	s_cmp_eq_u32 s21, s11
	s_cbranch_scc1 .LBB24_27
.LBB24_6:                               ;   Parent Loop BB24_3 Depth=1
                                        ; =>  This Loop Header: Depth=2
                                        ;       Child Loop BB24_9 Depth 3
                                        ;         Child Loop BB24_18 Depth 4
	s_andn2_b64 vcc, exec, s[4:5]
	s_cbranch_vccnz .LBB24_5
; %bb.7:                                ;   in Loop: Header=BB24_6 Depth=2
	s_mul_i32 s23, s21, s45
	s_mul_hi_u32 s34, s21, s51
	s_add_i32 s23, s34, s23
	s_mul_i32 s57, s21, s51
	s_mov_b32 s58, 0
	s_mov_b64 s[34:35], s[0:1]
	s_branch .LBB24_9
.LBB24_8:                               ;   in Loop: Header=BB24_9 Depth=3
	s_add_i32 s58, s58, 1
	s_add_u32 s34, s34, s26
	s_addc_u32 s35, s35, s27
	s_cmp_eq_u32 s58, s50
	s_cbranch_scc1 .LBB24_5
.LBB24_9:                               ;   Parent Loop BB24_3 Depth=1
                                        ;     Parent Loop BB24_6 Depth=2
                                        ; =>    This Loop Header: Depth=3
                                        ;         Child Loop BB24_18 Depth 4
	s_mul_i32 s36, s17, s58
	v_subrev_u32_e32 v14, s36, v10
	v_cmp_lt_i32_e32 vcc, -1, v14
	s_mov_b64 s[36:37], 0
                                        ; implicit-def: $vgpr12
                                        ; implicit-def: $vgpr4
                                        ; implicit-def: $vgpr5
                                        ; implicit-def: $vgpr13
	s_and_saveexec_b64 s[38:39], vcc
	s_xor_b64 s[38:39], exec, s[38:39]
	s_cbranch_execnz .LBB24_13
; %bb.10:                               ;   in Loop: Header=BB24_9 Depth=3
	s_andn2_saveexec_b64 s[38:39], s[38:39]
	s_cbranch_execnz .LBB24_14
.LBB24_11:                              ;   in Loop: Header=BB24_9 Depth=3
	s_or_b64 exec, exec, s[38:39]
	v_mov_b32_e32 v14, 1
	s_and_saveexec_b64 s[38:39], s[36:37]
	s_cbranch_execnz .LBB24_15
.LBB24_12:                              ;   in Loop: Header=BB24_9 Depth=3
	s_or_b64 exec, exec, s[38:39]
	s_andn2_b64 vcc, exec, s[6:7]
	s_cbranch_vccz .LBB24_16
	s_branch .LBB24_8
.LBB24_13:                              ;   in Loop: Header=BB24_9 Depth=3
	v_sub_u32_e32 v4, 0, v14
	v_max_i32_e32 v5, v14, v4
	v_mul_hi_u32 v4, v5, v7
	v_ashrrev_i32_e32 v12, 31, v14
	v_mul_lo_u32 v13, v4, s53
	v_sub_u32_e32 v5, v5, v13
	v_subrev_u32_e32 v13, s53, v5
	v_cmp_le_u32_e32 vcc, s53, v5
	v_cndmask_b32_e32 v14, v5, v13, vcc
	v_subrev_u32_e32 v15, s53, v14
	v_cmp_le_u32_e32 vcc, s53, v14
	v_cndmask_b32_e32 v14, v14, v15, vcc
	v_xor_b32_e32 v14, v14, v12
	v_sub_u32_e32 v14, v14, v12
	v_cmp_ne_u32_e32 vcc, 0, v14
	s_and_b64 s[36:37], vcc, exec
                                        ; implicit-def: $vgpr14
	s_andn2_saveexec_b64 s[38:39], s[38:39]
	s_cbranch_execz .LBB24_11
.LBB24_14:                              ;   in Loop: Header=BB24_9 Depth=3
	v_sub_u32_e32 v4, 0, v14
	v_max_i32_e32 v5, v14, v4
	v_mul_hi_u32 v4, v5, v7
	v_ashrrev_i32_e32 v12, 31, v14
	s_or_b64 s[36:37], s[36:37], exec
	v_mul_lo_u32 v13, v4, s53
	v_sub_u32_e32 v5, v5, v13
	v_subrev_u32_e32 v13, s53, v5
	s_or_b64 exec, exec, s[38:39]
	v_mov_b32_e32 v14, 1
	s_and_saveexec_b64 s[38:39], s[36:37]
	s_cbranch_execz .LBB24_12
.LBB24_15:                              ;   in Loop: Header=BB24_9 Depth=3
	v_mov_b32_e32 v14, 0
	s_or_b64 exec, exec, s[38:39]
	s_andn2_b64 vcc, exec, s[6:7]
	s_cbranch_vccnz .LBB24_8
.LBB24_16:                              ;   in Loop: Header=BB24_9 Depth=3
	v_add_u32_e32 v15, 1, v4
	v_cmp_le_u32_e32 vcc, s53, v5
	v_cndmask_b32_e32 v4, v4, v15, vcc
	v_cndmask_b32_e32 v5, v5, v13, vcc
	v_add_u32_e32 v13, 1, v4
	v_cmp_le_u32_e32 vcc, s53, v5
	v_xor_b32_e32 v12, s56, v12
	v_cndmask_b32_e32 v4, v4, v13, vcc
	v_xor_b32_e32 v4, v4, v12
	v_sub_u32_e32 v12, v4, v12
	v_ashrrev_i32_e32 v4, 31, v12
	v_mov_b32_e32 v5, s23
	v_add_co_u32_e32 v13, vcc, s57, v12
	v_addc_co_u32_e32 v4, vcc, v5, v4, vcc
	v_mul_lo_u32 v15, v4, s52
	v_mul_lo_u32 v16, v13, s46
	v_mad_u64_u32 v[4:5], s[36:37], v13, s52, 0
	v_cmp_gt_i32_e32 vcc, s51, v12
	v_cndmask_b32_e32 v12, 0, v14, vcc
	v_add3_u32 v5, v5, v16, v15
	v_lshlrev_b64 v[4:5], 2, v[4:5]
	v_mov_b32_e32 v14, s48
	v_add_co_u32_e32 v13, vcc, s47, v4
	v_addc_co_u32_e32 v14, vcc, v14, v5, vcc
	s_mov_b64 s[36:37], s[34:35]
	s_mov_b32 s59, s22
	v_mov_b32_e32 v15, v11
	s_branch .LBB24_18
.LBB24_17:                              ;   in Loop: Header=BB24_18 Depth=4
	s_or_b64 exec, exec, s[38:39]
	s_add_i32 s59, s59, -1
	s_add_u32 s36, s36, 4
	s_addc_u32 s37, s37, 0
	s_cmp_eq_u32 s59, 0
	v_subrev_u32_e32 v15, s18, v15
	s_cbranch_scc1 .LBB24_8
.LBB24_18:                              ;   Parent Loop BB24_3 Depth=1
                                        ;     Parent Loop BB24_6 Depth=2
                                        ;       Parent Loop BB24_9 Depth=3
                                        ; =>      This Inner Loop Header: Depth=4
	v_cmp_lt_i32_e32 vcc, -1, v15
	s_mov_b64 s[38:39], 0
	v_sub_u32_e32 v18, 0, v15
                                        ; implicit-def: $vgpr16
                                        ; implicit-def: $vgpr4
                                        ; implicit-def: $vgpr5
                                        ; implicit-def: $vgpr17
	s_and_saveexec_b64 s[40:41], vcc
	s_xor_b64 s[40:41], exec, s[40:41]
	s_cbranch_execnz .LBB24_24
; %bb.19:                               ;   in Loop: Header=BB24_18 Depth=4
	s_andn2_saveexec_b64 s[40:41], s[40:41]
	s_cbranch_execnz .LBB24_25
.LBB24_20:                              ;   in Loop: Header=BB24_18 Depth=4
	s_or_b64 exec, exec, s[40:41]
	v_mov_b32_e32 v18, 1
	s_and_saveexec_b64 s[40:41], s[38:39]
.LBB24_21:                              ;   in Loop: Header=BB24_18 Depth=4
	v_mov_b32_e32 v18, 0
.LBB24_22:                              ;   in Loop: Header=BB24_18 Depth=4
	s_or_b64 exec, exec, s[40:41]
	v_add_u32_e32 v19, 1, v4
	v_cmp_le_u32_e32 vcc, s54, v5
	v_cndmask_b32_e32 v4, v4, v19, vcc
	v_cndmask_b32_e32 v5, v5, v17, vcc
	v_add_u32_e32 v17, 1, v4
	v_cmp_le_u32_e32 vcc, s54, v5
	v_xor_b32_e32 v16, s16, v16
	v_cndmask_b32_e32 v4, v4, v17, vcc
	v_xor_b32_e32 v4, v4, v16
	v_sub_u32_e32 v4, v4, v16
	v_cmp_gt_i32_e32 vcc, s52, v4
	v_cndmask_b32_e32 v5, 0, v18, vcc
	v_and_b32_e32 v5, v5, v12
	v_and_b32_e32 v5, 1, v5
	v_cmp_eq_u32_e32 vcc, 1, v5
	s_and_saveexec_b64 s[38:39], vcc
	s_cbranch_execz .LBB24_17
; %bb.23:                               ;   in Loop: Header=BB24_18 Depth=4
	v_ashrrev_i32_e32 v5, 31, v4
	v_lshlrev_b64 v[4:5], 2, v[4:5]
	s_load_dword s40, s[36:37], 0x0
	v_add_co_u32_e32 v4, vcc, v13, v4
	v_addc_co_u32_e32 v5, vcc, v14, v5, vcc
	global_load_dword v4, v[4:5], off
	s_waitcnt lgkmcnt(0)
	v_cvt_f64_f32_e32 v[16:17], s40
	s_waitcnt vmcnt(0)
	v_cvt_f64_f32_e32 v[4:5], v4
	v_fma_f64 v[1:2], v[4:5], v[16:17], v[1:2]
	s_branch .LBB24_17
.LBB24_24:                              ;   in Loop: Header=BB24_18 Depth=4
	v_max_i32_e32 v5, v15, v18
	v_mul_hi_u32 v4, v5, v8
	v_ashrrev_i32_e32 v16, 31, v15
	v_mul_lo_u32 v17, v4, s54
	v_sub_u32_e32 v5, v5, v17
	v_subrev_u32_e32 v17, s54, v5
	v_cmp_le_u32_e32 vcc, s54, v5
	v_cndmask_b32_e32 v18, v5, v17, vcc
	v_subrev_u32_e32 v19, s54, v18
	v_cmp_le_u32_e32 vcc, s54, v18
	v_cndmask_b32_e32 v18, v18, v19, vcc
	v_xor_b32_e32 v18, v18, v16
	v_sub_u32_e32 v18, v18, v16
	v_cmp_ne_u32_e32 vcc, 0, v18
	s_and_b64 s[38:39], vcc, exec
                                        ; implicit-def: $vgpr18
	s_andn2_saveexec_b64 s[40:41], s[40:41]
	s_cbranch_execz .LBB24_20
.LBB24_25:                              ;   in Loop: Header=BB24_18 Depth=4
	v_max_i32_e32 v5, v15, v18
	v_mul_hi_u32 v4, v5, v8
	v_ashrrev_i32_e32 v16, 31, v15
	s_or_b64 s[38:39], s[38:39], exec
	v_mul_lo_u32 v17, v4, s54
	v_sub_u32_e32 v5, v5, v17
	v_subrev_u32_e32 v17, s54, v5
	s_or_b64 exec, exec, s[40:41]
	v_mov_b32_e32 v18, 1
	s_and_saveexec_b64 s[40:41], s[38:39]
	s_cbranch_execnz .LBB24_21
	s_branch .LBB24_22
.LBB24_26:                              ;   in Loop: Header=BB24_3 Depth=1
	v_mov_b32_e32 v1, 0
	v_mov_b32_e32 v2, 0
.LBB24_27:                              ;   in Loop: Header=BB24_3 Depth=1
	v_mad_i64_i32 v[9:10], s[0:1], v9, s42, 0
	v_ashrrev_i32_e32 v4, 31, v3
	v_lshlrev_b64 v[3:4], 2, v[3:4]
	v_lshlrev_b64 v[9:10], 2, v[9:10]
	v_mov_b32_e32 v5, s44
	v_add_co_u32_e32 v9, vcc, s43, v9
	v_addc_co_u32_e32 v5, vcc, v5, v10, vcc
	v_add_co_u32_e64 v3, s[0:1], v9, v3
	s_andn2_b64 vcc, exec, s[24:25]
	v_addc_co_u32_e64 v4, s[0:1], v5, v4, s[0:1]
	s_cbranch_vccnz .LBB24_2
; %bb.28:                               ;   in Loop: Header=BB24_3 Depth=1
	global_load_dword v5, v[3:4], off
	s_waitcnt vmcnt(0)
	v_cvt_f64_f32_e32 v[9:10], v5
	v_mul_f64 v[9:10], s[30:31], v[9:10]
	v_fma_f64 v[1:2], s[28:29], v[1:2], v[9:10]
	s_branch .LBB24_2
.LBB24_29:
	s_endpgm
	.section	.rodata,"a",@progbits
	.p2align	6, 0x0
	.amdhsa_kernel naive_conv_ab_packed_bwd_nchw_float_double_float
		.amdhsa_group_segment_fixed_size 0
		.amdhsa_private_segment_fixed_size 0
		.amdhsa_kernarg_size 480
		.amdhsa_user_sgpr_count 6
		.amdhsa_user_sgpr_private_segment_buffer 1
		.amdhsa_user_sgpr_dispatch_ptr 0
		.amdhsa_user_sgpr_queue_ptr 0
		.amdhsa_user_sgpr_kernarg_segment_ptr 1
		.amdhsa_user_sgpr_dispatch_id 0
		.amdhsa_user_sgpr_flat_scratch_init 0
		.amdhsa_user_sgpr_private_segment_size 0
		.amdhsa_uses_dynamic_stack 0
		.amdhsa_system_sgpr_private_segment_wavefront_offset 0
		.amdhsa_system_sgpr_workgroup_id_x 1
		.amdhsa_system_sgpr_workgroup_id_y 0
		.amdhsa_system_sgpr_workgroup_id_z 0
		.amdhsa_system_sgpr_workgroup_info 0
		.amdhsa_system_vgpr_workitem_id 0
		.amdhsa_next_free_vgpr 20
		.amdhsa_next_free_sgpr 60
		.amdhsa_reserve_vcc 1
		.amdhsa_reserve_flat_scratch 0
		.amdhsa_float_round_mode_32 0
		.amdhsa_float_round_mode_16_64 0
		.amdhsa_float_denorm_mode_32 3
		.amdhsa_float_denorm_mode_16_64 3
		.amdhsa_dx10_clamp 1
		.amdhsa_ieee_mode 1
		.amdhsa_fp16_overflow 0
		.amdhsa_exception_fp_ieee_invalid_op 0
		.amdhsa_exception_fp_denorm_src 0
		.amdhsa_exception_fp_ieee_div_zero 0
		.amdhsa_exception_fp_ieee_overflow 0
		.amdhsa_exception_fp_ieee_underflow 0
		.amdhsa_exception_fp_ieee_inexact 0
		.amdhsa_exception_int_div_zero 0
	.end_amdhsa_kernel
	.text
.Lfunc_end24:
	.size	naive_conv_ab_packed_bwd_nchw_float_double_float, .Lfunc_end24-naive_conv_ab_packed_bwd_nchw_float_double_float
                                        ; -- End function
	.set naive_conv_ab_packed_bwd_nchw_float_double_float.num_vgpr, 20
	.set naive_conv_ab_packed_bwd_nchw_float_double_float.num_agpr, 0
	.set naive_conv_ab_packed_bwd_nchw_float_double_float.numbered_sgpr, 60
	.set naive_conv_ab_packed_bwd_nchw_float_double_float.num_named_barrier, 0
	.set naive_conv_ab_packed_bwd_nchw_float_double_float.private_seg_size, 0
	.set naive_conv_ab_packed_bwd_nchw_float_double_float.uses_vcc, 1
	.set naive_conv_ab_packed_bwd_nchw_float_double_float.uses_flat_scratch, 0
	.set naive_conv_ab_packed_bwd_nchw_float_double_float.has_dyn_sized_stack, 0
	.set naive_conv_ab_packed_bwd_nchw_float_double_float.has_recursion, 0
	.set naive_conv_ab_packed_bwd_nchw_float_double_float.has_indirect_call, 0
	.section	.AMDGPU.csdata,"",@progbits
; Kernel info:
; codeLenInByte = 1928
; TotalNumSgprs: 64
; NumVgprs: 20
; ScratchSize: 0
; MemoryBound: 0
; FloatMode: 240
; IeeeMode: 1
; LDSByteSize: 0 bytes/workgroup (compile time only)
; SGPRBlocks: 7
; VGPRBlocks: 4
; NumSGPRsForWavesPerEU: 64
; NumVGPRsForWavesPerEU: 20
; Occupancy: 10
; WaveLimiterHint : 0
; COMPUTE_PGM_RSRC2:SCRATCH_EN: 0
; COMPUTE_PGM_RSRC2:USER_SGPR: 6
; COMPUTE_PGM_RSRC2:TRAP_HANDLER: 0
; COMPUTE_PGM_RSRC2:TGID_X_EN: 1
; COMPUTE_PGM_RSRC2:TGID_Y_EN: 0
; COMPUTE_PGM_RSRC2:TGID_Z_EN: 0
; COMPUTE_PGM_RSRC2:TIDIG_COMP_CNT: 0
	.text
	.protected	naive_conv_ab_nonpacked_bwd_nchw_float_double_float ; -- Begin function naive_conv_ab_nonpacked_bwd_nchw_float_double_float
	.globl	naive_conv_ab_nonpacked_bwd_nchw_float_double_float
	.p2align	8
	.type	naive_conv_ab_nonpacked_bwd_nchw_float_double_float,@function
naive_conv_ab_nonpacked_bwd_nchw_float_double_float: ; @naive_conv_ab_nonpacked_bwd_nchw_float_double_float
; %bb.0:
	s_load_dwordx8 s[24:31], s[4:5], 0xa0
	s_abs_i32 s2, s6
	s_waitcnt lgkmcnt(0)
	s_abs_i32 s0, s28
	v_cvt_f32_u32_e32 v1, s0
	s_sub_i32 s1, 0, s0
	s_mul_i32 s8, s28, s26
	s_mul_i32 s24, s25, s24
	v_rcp_iflag_f32_e32 v1, v1
	v_cmp_gt_i32_e32 vcc, s24, v0
	v_mul_f32_e32 v1, 0x4f7ffffe, v1
	v_cvt_u32_f32_e32 v1, v1
	v_readfirstlane_b32 s3, v1
	s_mul_i32 s1, s1, s3
	s_mul_hi_u32 s1, s3, s1
	s_add_i32 s3, s3, s1
	s_mul_hi_u32 s1, s2, s3
	s_mul_i32 s3, s1, s0
	s_sub_i32 s3, s2, s3
	s_add_i32 s7, s1, 1
	s_sub_i32 s9, s3, s0
	s_cmp_ge_u32 s3, s0
	s_cselect_b32 s1, s7, s1
	s_cselect_b32 s3, s9, s3
	s_add_i32 s7, s1, 1
	s_cmp_ge_u32 s3, s0
	s_cselect_b32 s9, s7, s1
	s_abs_i32 s7, s26
	s_abs_i32 s3, s8
	v_cvt_f32_u32_e32 v1, s7
	v_cvt_f32_u32_e32 v2, s3
	v_rcp_iflag_f32_e32 v1, v1
	v_rcp_iflag_f32_e32 v2, v2
	v_mul_f32_e32 v1, 0x4f7ffffe, v1
	v_mul_f32_e32 v2, 0x4f7ffffe, v2
	v_cvt_u32_f32_e32 v1, v1
	v_cvt_u32_f32_e32 v2, v2
	v_readfirstlane_b32 s11, v1
	v_readfirstlane_b32 s10, v2
	s_and_saveexec_b64 s[0:1], vcc
	s_cbranch_execz .LBB25_29
; %bb.1:
	s_ashr_i32 s26, s6, 31
	s_ashr_i32 s12, s28, 31
	s_xor_b32 s12, s26, s12
	s_xor_b32 s9, s9, s12
	s_sub_i32 s33, s9, s12
	s_sub_i32 s9, 0, s7
	s_mul_i32 s9, s9, s11
	s_mul_hi_u32 s9, s11, s9
	s_load_dwordx8 s[36:43], s[4:5], 0x0
	s_load_dwordx2 s[0:1], s[4:5], 0x20
	s_load_dwordx8 s[44:51], s[4:5], 0xc0
	s_abs_i32 s35, s33
	s_add_i32 s11, s11, s9
	s_waitcnt lgkmcnt(0)
	s_mul_hi_u32 s51, s35, s11
	s_ashr_i32 s52, s8, 31
	s_sub_i32 s8, 0, s3
	s_ashr_i32 s34, s33, 31
	s_mul_i32 s8, s8, s10
	s_mul_i32 s33, s33, s28
	;; [unrolled: 1-line block ×3, first 2 shown]
	s_mul_hi_u32 s8, s10, s8
	s_sub_i32 s54, s6, s33
	s_sub_i32 s6, s35, s51
	s_add_i32 s10, s10, s8
	s_sub_i32 s28, s6, s7
	s_cmp_ge_u32 s6, s7
	s_cselect_b32 s6, s28, s6
	s_sub_i32 s28, s6, s7
	s_mul_hi_u32 s53, s2, s10
	s_cmp_ge_u32 s6, s7
	s_cselect_b32 s6, s28, s6
	s_mul_i32 s7, s53, s3
	s_xor_b32 s6, s6, s34
	s_sub_i32 s2, s2, s7
	s_sub_i32 s33, s6, s34
	s_xor_b32 s6, s26, s52
	s_add_i32 s7, s53, 1
	s_sub_i32 s26, s2, s3
	s_cmp_ge_u32 s2, s3
	s_load_dwordx16 s[8:23], s[4:5], 0x28
	s_cselect_b32 s7, s7, s53
	s_cselect_b32 s2, s26, s2
	s_add_i32 s26, s7, 1
	s_cmp_ge_u32 s2, s3
	s_cselect_b32 s2, s26, s7
	s_xor_b32 s2, s2, s6
	s_ashr_i32 s35, s33, 31
	s_sub_i32 s34, s2, s6
	s_waitcnt lgkmcnt(0)
	s_mul_i32 s2, s16, s35
	s_mul_hi_u32 s3, s16, s33
	s_add_i32 s2, s3, s2
	s_mul_i32 s3, s17, s33
	s_add_i32 s3, s2, s3
	s_mul_i32 s2, s16, s33
	s_ashr_i32 s16, s34, 31
	s_mul_i32 s6, s14, s16
	s_mul_hi_u32 s7, s14, s34
	s_add_i32 s6, s7, s6
	s_mul_i32 s7, s15, s34
	s_ashr_i32 s17, s54, 31
	s_add_i32 s7, s6, s7
	s_mul_i32 s6, s14, s34
	s_mul_i32 s14, s12, s17
	s_mul_hi_u32 s15, s12, s54
	s_add_i32 s14, s15, s14
	s_mul_i32 s13, s13, s54
	s_add_i32 s13, s14, s13
	s_lshl_b64 s[2:3], s[2:3], 2
	s_add_u32 s14, s36, s2
	s_addc_u32 s15, s37, s3
	s_lshl_b64 s[2:3], s[6:7], 2
	s_add_u32 s14, s14, s2
	s_addc_u32 s15, s15, s3
	s_load_dwordx2 s[2:3], s[4:5], 0x98
	s_load_dwordx4 s[60:63], s[4:5], 0x88
	s_mul_i32 s12, s12, s54
	s_lshl_b64 s[6:7], s[12:13], 2
	s_add_u32 s26, s14, s6
	s_addc_u32 s28, s15, s7
	s_waitcnt lgkmcnt(0)
	s_mul_i32 s6, s2, s35
	s_mul_hi_u32 s7, s2, s33
	s_add_i32 s6, s7, s6
	s_mul_i32 s3, s3, s33
	s_add_i32 s3, s6, s3
	s_mul_i32 s6, s62, s16
	s_mul_hi_u32 s7, s62, s34
	s_mul_i32 s2, s2, s33
	s_add_i32 s6, s7, s6
	s_mul_i32 s7, s63, s34
	s_add_i32 s7, s6, s7
	s_lshl_b64 s[2:3], s[2:3], 2
	s_mul_i32 s6, s62, s34
	s_add_u32 s2, s0, s2
	s_addc_u32 s3, s1, s3
	s_lshl_b64 s[0:1], s[6:7], 2
	s_add_u32 s33, s2, s0
	s_addc_u32 s51, s3, s1
	v_cmp_neq_f64_e64 s[0:1], s[40:41], 1.0
	v_cmp_neq_f64_e64 s[14:15], s[42:43], 0
	s_cmp_gt_i32 s27, 0
	s_cselect_b64 s[2:3], -1, 0
	s_cmp_gt_i32 s49, 0
	s_cselect_b64 s[6:7], -1, 0
	;; [unrolled: 2-line block ×3, first 2 shown]
	s_abs_i32 s62, s25
	s_ashr_i32 s63, s31, 31
	s_abs_i32 s31, s31
	s_ashr_i32 s64, s44, 31
	s_abs_i32 s44, s44
	v_cvt_f32_u32_e32 v1, s62
	v_cvt_f32_u32_e32 v3, s31
	;; [unrolled: 1-line block ×3, first 2 shown]
	s_or_b64 s[14:15], s[0:1], s[14:15]
	s_mul_i32 s0, s22, s17
	s_mul_hi_u32 s1, s22, s54
	s_add_i32 s0, s1, s0
	s_mul_i32 s1, s23, s54
	v_rcp_iflag_f32_e32 v1, v1
	v_rcp_iflag_f32_e32 v3, v3
	;; [unrolled: 1-line block ×3, first 2 shown]
	s_add_i32 s1, s0, s1
	s_mul_i32 s0, s22, s54
	s_load_dword s17, s[4:5], 0xec
	s_load_dwordx8 s[52:59], s[4:5], 0x68
	v_mul_f32_e32 v1, 0x4f7ffffe, v1
	v_mul_f32_e32 v3, 0x4f7ffffe, v3
	;; [unrolled: 1-line block ×3, first 2 shown]
	v_cvt_u32_f32_e32 v1, v1
	v_cvt_u32_f32_e32 v3, v3
	;; [unrolled: 1-line block ×3, first 2 shown]
	s_waitcnt lgkmcnt(0)
	s_mul_i32 s4, s54, s16
	s_mul_hi_u32 s5, s54, s34
	s_add_i32 s4, s5, s4
	s_mul_i32 s5, s55, s34
	s_add_i32 s5, s4, s5
	s_mul_i32 s4, s54, s34
	s_and_b32 s54, s17, 0xffff
	s_sub_i32 s16, 0, s62
	s_sub_i32 s17, 0, s31
	;; [unrolled: 1-line block ×3, first 2 shown]
	v_mul_lo_u32 v2, s16, v1
	v_mul_lo_u32 v4, s17, v3
	;; [unrolled: 1-line block ×3, first 2 shown]
	s_lshl_b64 s[0:1], s[0:1], 2
	s_lshl_b64 s[4:5], s[4:5], 2
	s_ashr_i32 s55, s25, 31
	v_mul_hi_u32 v2, v1, v2
	v_mul_hi_u32 v4, v3, v4
	;; [unrolled: 1-line block ×3, first 2 shown]
	s_add_u32 s0, s0, s4
	s_addc_u32 s1, s1, s5
	s_add_u32 s4, s38, s0
	s_addc_u32 s5, s39, s1
	v_add_u32_e32 v5, v1, v2
	v_add_u32_e32 v6, v3, v4
	;; [unrolled: 1-line block ×3, first 2 shown]
	s_mov_b64 s[16:17], 0
	s_lshl_b64 s[22:23], s[52:53], 2
	s_lshl_b64 s[20:21], s[20:21], 2
	;; [unrolled: 1-line block ×3, first 2 shown]
	s_branch .LBB25_3
.LBB25_2:                               ;   in Loop: Header=BB25_3 Depth=1
	v_cvt_f32_f64_e32 v1, v[1:2]
	v_add_u32_e32 v0, s54, v0
	v_cmp_le_i32_e32 vcc, s24, v0
	s_or_b64 s[16:17], vcc, s[16:17]
	global_store_dword v[3:4], v1, off
	s_andn2_b64 exec, exec, s[16:17]
	s_cbranch_execz .LBB25_29
.LBB25_3:                               ; =>This Loop Header: Depth=1
                                        ;     Child Loop BB25_6 Depth 2
                                        ;       Child Loop BB25_9 Depth 3
                                        ;         Child Loop BB25_18 Depth 4
	v_sub_u32_e32 v1, 0, v0
	v_max_i32_e32 v1, v0, v1
	v_mul_hi_u32 v2, v1, v5
	v_ashrrev_i32_e32 v4, 31, v0
	v_xor_b32_e32 v4, s55, v4
	v_mul_lo_u32 v3, v2, s62
	v_add_u32_e32 v8, 1, v2
	v_sub_u32_e32 v1, v1, v3
	v_cmp_le_u32_e32 vcc, s62, v1
	v_subrev_u32_e32 v3, s62, v1
	v_cndmask_b32_e32 v2, v2, v8, vcc
	v_cndmask_b32_e32 v1, v1, v3, vcc
	v_add_u32_e32 v3, 1, v2
	v_cmp_le_u32_e32 vcc, s62, v1
	v_cndmask_b32_e32 v1, v2, v3, vcc
	v_xor_b32_e32 v1, v1, v4
	v_sub_u32_e32 v4, v1, v4
	v_mul_lo_u32 v1, v4, s25
	s_andn2_b64 vcc, exec, s[2:3]
	v_sub_u32_e32 v3, v0, v1
	s_cbranch_vccnz .LBB25_26
; %bb.4:                                ;   in Loop: Header=BB25_3 Depth=1
	v_mov_b32_e32 v1, 0
	v_add_u32_e32 v8, s47, v4
	v_add_u32_e32 v9, s48, v3
	v_mov_b32_e32 v2, 0
	s_mov_b32 s65, 0
	s_mov_b64 s[0:1], s[4:5]
	s_branch .LBB25_6
.LBB25_5:                               ;   in Loop: Header=BB25_6 Depth=2
	s_add_i32 s65, s65, 1
	s_add_u32 s0, s0, s22
	s_addc_u32 s1, s1, s23
	s_cmp_eq_u32 s65, s27
	s_cbranch_scc1 .LBB25_27
.LBB25_6:                               ;   Parent Loop BB25_3 Depth=1
                                        ; =>  This Loop Header: Depth=2
                                        ;       Child Loop BB25_9 Depth 3
                                        ;         Child Loop BB25_18 Depth 4
	s_andn2_b64 vcc, exec, s[6:7]
	s_cbranch_vccnz .LBB25_5
; %bb.7:                                ;   in Loop: Header=BB25_6 Depth=2
	s_mul_i32 s34, s61, s65
	s_mul_hi_u32 s35, s60, s65
	s_add_i32 s35, s35, s34
	s_mul_i32 s34, s60, s65
	s_lshl_b64 s[34:35], s[34:35], 2
	s_add_u32 s66, s33, s34
	s_addc_u32 s67, s51, s35
	s_mov_b32 s68, 0
	s_mov_b64 s[34:35], s[0:1]
	s_branch .LBB25_9
.LBB25_8:                               ;   in Loop: Header=BB25_9 Depth=3
	s_add_i32 s68, s68, 1
	s_add_u32 s34, s34, s20
	s_addc_u32 s35, s35, s21
	s_cmp_eq_u32 s68, s49
	s_cbranch_scc1 .LBB25_5
.LBB25_9:                               ;   Parent Loop BB25_3 Depth=1
                                        ;     Parent Loop BB25_6 Depth=2
                                        ; =>    This Loop Header: Depth=3
                                        ;         Child Loop BB25_18 Depth 4
	s_mul_i32 s36, s45, s68
	v_subrev_u32_e32 v14, s36, v8
	v_cmp_lt_i32_e32 vcc, -1, v14
	s_mov_b64 s[36:37], 0
                                        ; implicit-def: $vgpr12
                                        ; implicit-def: $vgpr10
                                        ; implicit-def: $vgpr11
                                        ; implicit-def: $vgpr13
	s_and_saveexec_b64 s[38:39], vcc
	s_xor_b64 s[38:39], exec, s[38:39]
	s_cbranch_execnz .LBB25_13
; %bb.10:                               ;   in Loop: Header=BB25_9 Depth=3
	s_andn2_saveexec_b64 s[38:39], s[38:39]
	s_cbranch_execnz .LBB25_14
.LBB25_11:                              ;   in Loop: Header=BB25_9 Depth=3
	s_or_b64 exec, exec, s[38:39]
	v_mov_b32_e32 v14, 1
	s_and_saveexec_b64 s[38:39], s[36:37]
	s_cbranch_execnz .LBB25_15
.LBB25_12:                              ;   in Loop: Header=BB25_9 Depth=3
	s_or_b64 exec, exec, s[38:39]
	s_andn2_b64 vcc, exec, s[12:13]
	s_cbranch_vccz .LBB25_16
	s_branch .LBB25_8
.LBB25_13:                              ;   in Loop: Header=BB25_9 Depth=3
	v_sub_u32_e32 v10, 0, v14
	v_max_i32_e32 v11, v14, v10
	v_mul_hi_u32 v10, v11, v6
	v_ashrrev_i32_e32 v12, 31, v14
	v_mul_lo_u32 v13, v10, s31
	v_sub_u32_e32 v11, v11, v13
	v_subrev_u32_e32 v13, s31, v11
	v_cmp_le_u32_e32 vcc, s31, v11
	v_cndmask_b32_e32 v14, v11, v13, vcc
	v_subrev_u32_e32 v15, s31, v14
	v_cmp_le_u32_e32 vcc, s31, v14
	v_cndmask_b32_e32 v14, v14, v15, vcc
	v_xor_b32_e32 v14, v14, v12
	v_sub_u32_e32 v14, v14, v12
	v_cmp_ne_u32_e32 vcc, 0, v14
	s_and_b64 s[36:37], vcc, exec
                                        ; implicit-def: $vgpr14
	s_andn2_saveexec_b64 s[38:39], s[38:39]
	s_cbranch_execz .LBB25_11
.LBB25_14:                              ;   in Loop: Header=BB25_9 Depth=3
	v_sub_u32_e32 v10, 0, v14
	v_max_i32_e32 v11, v14, v10
	v_mul_hi_u32 v10, v11, v6
	v_ashrrev_i32_e32 v12, 31, v14
	s_or_b64 s[36:37], s[36:37], exec
	v_mul_lo_u32 v13, v10, s31
	v_sub_u32_e32 v11, v11, v13
	v_subrev_u32_e32 v13, s31, v11
	s_or_b64 exec, exec, s[38:39]
	v_mov_b32_e32 v14, 1
	s_and_saveexec_b64 s[38:39], s[36:37]
	s_cbranch_execz .LBB25_12
.LBB25_15:                              ;   in Loop: Header=BB25_9 Depth=3
	v_mov_b32_e32 v14, 0
	s_or_b64 exec, exec, s[38:39]
	s_andn2_b64 vcc, exec, s[12:13]
	s_cbranch_vccnz .LBB25_8
.LBB25_16:                              ;   in Loop: Header=BB25_9 Depth=3
	v_add_u32_e32 v15, 1, v10
	v_cmp_le_u32_e32 vcc, s31, v11
	v_cndmask_b32_e32 v10, v10, v15, vcc
	v_cndmask_b32_e32 v11, v11, v13, vcc
	v_add_u32_e32 v13, 1, v10
	v_cmp_le_u32_e32 vcc, s31, v11
	v_xor_b32_e32 v12, s63, v12
	v_cndmask_b32_e32 v10, v10, v13, vcc
	v_xor_b32_e32 v10, v10, v12
	v_sub_u32_e32 v10, v10, v12
	v_ashrrev_i32_e32 v11, 31, v10
	v_mul_lo_u32 v13, s58, v11
	v_mul_lo_u32 v15, s59, v10
	v_mad_u64_u32 v[11:12], s[36:37], s58, v10, 0
	v_cmp_gt_i32_e32 vcc, s29, v10
	v_cndmask_b32_e32 v10, 0, v14, vcc
	v_add3_u32 v12, v12, v13, v15
	v_lshlrev_b64 v[11:12], 2, v[11:12]
	v_mov_b32_e32 v13, s67
	v_add_co_u32_e32 v11, vcc, s66, v11
	v_addc_co_u32_e32 v12, vcc, v13, v12, vcc
	s_mov_b64 s[36:37], s[34:35]
	s_mov_b32 s69, s50
	v_mov_b32_e32 v13, v9
	s_branch .LBB25_18
.LBB25_17:                              ;   in Loop: Header=BB25_18 Depth=4
	s_or_b64 exec, exec, s[38:39]
	s_add_i32 s69, s69, -1
	s_add_u32 s36, s36, s18
	s_addc_u32 s37, s37, s19
	s_cmp_eq_u32 s69, 0
	v_subrev_u32_e32 v13, s46, v13
	s_cbranch_scc1 .LBB25_8
.LBB25_18:                              ;   Parent Loop BB25_3 Depth=1
                                        ;     Parent Loop BB25_6 Depth=2
                                        ;       Parent Loop BB25_9 Depth=3
                                        ; =>      This Inner Loop Header: Depth=4
	v_cmp_lt_i32_e32 vcc, -1, v13
	s_mov_b64 s[38:39], 0
	v_sub_u32_e32 v18, 0, v13
                                        ; implicit-def: $vgpr16
                                        ; implicit-def: $vgpr14
                                        ; implicit-def: $vgpr15
                                        ; implicit-def: $vgpr17
	s_and_saveexec_b64 s[52:53], vcc
	s_xor_b64 s[52:53], exec, s[52:53]
	s_cbranch_execnz .LBB25_24
; %bb.19:                               ;   in Loop: Header=BB25_18 Depth=4
	s_andn2_saveexec_b64 s[52:53], s[52:53]
	s_cbranch_execnz .LBB25_25
.LBB25_20:                              ;   in Loop: Header=BB25_18 Depth=4
	s_or_b64 exec, exec, s[52:53]
	v_mov_b32_e32 v18, 1
	s_and_saveexec_b64 s[52:53], s[38:39]
.LBB25_21:                              ;   in Loop: Header=BB25_18 Depth=4
	v_mov_b32_e32 v18, 0
.LBB25_22:                              ;   in Loop: Header=BB25_18 Depth=4
	s_or_b64 exec, exec, s[52:53]
	v_add_u32_e32 v19, 1, v14
	v_cmp_le_u32_e32 vcc, s44, v15
	v_cndmask_b32_e32 v14, v14, v19, vcc
	v_cndmask_b32_e32 v15, v15, v17, vcc
	v_add_u32_e32 v17, 1, v14
	v_cmp_le_u32_e32 vcc, s44, v15
	v_xor_b32_e32 v16, s64, v16
	v_cndmask_b32_e32 v14, v14, v17, vcc
	v_xor_b32_e32 v14, v14, v16
	v_sub_u32_e32 v14, v14, v16
	v_cmp_gt_i32_e32 vcc, s30, v14
	v_cndmask_b32_e32 v15, 0, v18, vcc
	v_and_b32_e32 v15, v15, v10
	v_and_b32_e32 v15, 1, v15
	v_cmp_eq_u32_e32 vcc, 1, v15
	s_and_saveexec_b64 s[38:39], vcc
	s_cbranch_execz .LBB25_17
; %bb.23:                               ;   in Loop: Header=BB25_18 Depth=4
	v_ashrrev_i32_e32 v16, 31, v14
	v_mul_lo_u32 v17, s57, v14
	v_mad_u64_u32 v[14:15], s[52:53], s56, v14, 0
	v_mul_lo_u32 v16, s56, v16
	s_load_dword s52, s[36:37], 0x0
	v_add3_u32 v15, v15, v16, v17
	v_lshlrev_b64 v[14:15], 2, v[14:15]
	s_waitcnt lgkmcnt(0)
	v_cvt_f64_f32_e32 v[16:17], s52
	v_add_co_u32_e32 v14, vcc, v11, v14
	v_addc_co_u32_e32 v15, vcc, v12, v15, vcc
	global_load_dword v14, v[14:15], off
	s_waitcnt vmcnt(0)
	v_cvt_f64_f32_e32 v[14:15], v14
	v_fma_f64 v[1:2], v[14:15], v[16:17], v[1:2]
	s_branch .LBB25_17
.LBB25_24:                              ;   in Loop: Header=BB25_18 Depth=4
	v_max_i32_e32 v15, v13, v18
	v_mul_hi_u32 v14, v15, v7
	v_ashrrev_i32_e32 v16, 31, v13
	v_mul_lo_u32 v17, v14, s44
	v_sub_u32_e32 v15, v15, v17
	v_subrev_u32_e32 v17, s44, v15
	v_cmp_le_u32_e32 vcc, s44, v15
	v_cndmask_b32_e32 v18, v15, v17, vcc
	v_subrev_u32_e32 v19, s44, v18
	v_cmp_le_u32_e32 vcc, s44, v18
	v_cndmask_b32_e32 v18, v18, v19, vcc
	v_xor_b32_e32 v18, v18, v16
	v_sub_u32_e32 v18, v18, v16
	v_cmp_ne_u32_e32 vcc, 0, v18
	s_and_b64 s[38:39], vcc, exec
                                        ; implicit-def: $vgpr18
	s_andn2_saveexec_b64 s[52:53], s[52:53]
	s_cbranch_execz .LBB25_20
.LBB25_25:                              ;   in Loop: Header=BB25_18 Depth=4
	v_max_i32_e32 v15, v13, v18
	v_mul_hi_u32 v14, v15, v7
	v_ashrrev_i32_e32 v16, 31, v13
	s_or_b64 s[38:39], s[38:39], exec
	v_mul_lo_u32 v17, v14, s44
	v_sub_u32_e32 v15, v15, v17
	v_subrev_u32_e32 v17, s44, v15
	s_or_b64 exec, exec, s[52:53]
	v_mov_b32_e32 v18, 1
	s_and_saveexec_b64 s[52:53], s[38:39]
	s_cbranch_execnz .LBB25_21
	s_branch .LBB25_22
.LBB25_26:                              ;   in Loop: Header=BB25_3 Depth=1
	v_mov_b32_e32 v1, 0
	v_mov_b32_e32 v2, 0
.LBB25_27:                              ;   in Loop: Header=BB25_3 Depth=1
	v_ashrrev_i32_e32 v8, 31, v4
	v_mul_lo_u32 v10, s11, v4
	v_mul_lo_u32 v11, s10, v8
	v_mad_u64_u32 v[8:9], s[0:1], s10, v4, 0
	v_ashrrev_i32_e32 v4, 31, v3
	v_mul_lo_u32 v12, s9, v3
	v_mul_lo_u32 v13, s8, v4
	v_mad_u64_u32 v[3:4], s[0:1], s8, v3, 0
	v_add3_u32 v9, v9, v11, v10
	v_lshlrev_b64 v[8:9], 2, v[8:9]
	v_add3_u32 v4, v4, v13, v12
	v_lshlrev_b64 v[3:4], 2, v[3:4]
	v_mov_b32_e32 v10, s28
	v_add_co_u32_e32 v8, vcc, s26, v8
	v_addc_co_u32_e32 v9, vcc, v10, v9, vcc
	v_add_co_u32_e64 v3, s[0:1], v8, v3
	s_andn2_b64 vcc, exec, s[14:15]
	v_addc_co_u32_e64 v4, s[0:1], v9, v4, s[0:1]
	s_cbranch_vccnz .LBB25_2
; %bb.28:                               ;   in Loop: Header=BB25_3 Depth=1
	global_load_dword v8, v[3:4], off
	s_waitcnt vmcnt(0)
	v_cvt_f64_f32_e32 v[8:9], v8
	v_mul_f64 v[8:9], s[42:43], v[8:9]
	v_fma_f64 v[1:2], s[40:41], v[1:2], v[8:9]
	s_branch .LBB25_2
.LBB25_29:
	s_endpgm
	.section	.rodata,"a",@progbits
	.p2align	6, 0x0
	.amdhsa_kernel naive_conv_ab_nonpacked_bwd_nchw_float_double_float
		.amdhsa_group_segment_fixed_size 0
		.amdhsa_private_segment_fixed_size 0
		.amdhsa_kernarg_size 480
		.amdhsa_user_sgpr_count 6
		.amdhsa_user_sgpr_private_segment_buffer 1
		.amdhsa_user_sgpr_dispatch_ptr 0
		.amdhsa_user_sgpr_queue_ptr 0
		.amdhsa_user_sgpr_kernarg_segment_ptr 1
		.amdhsa_user_sgpr_dispatch_id 0
		.amdhsa_user_sgpr_flat_scratch_init 0
		.amdhsa_user_sgpr_private_segment_size 0
		.amdhsa_uses_dynamic_stack 0
		.amdhsa_system_sgpr_private_segment_wavefront_offset 0
		.amdhsa_system_sgpr_workgroup_id_x 1
		.amdhsa_system_sgpr_workgroup_id_y 0
		.amdhsa_system_sgpr_workgroup_id_z 0
		.amdhsa_system_sgpr_workgroup_info 0
		.amdhsa_system_vgpr_workitem_id 0
		.amdhsa_next_free_vgpr 20
		.amdhsa_next_free_sgpr 70
		.amdhsa_reserve_vcc 1
		.amdhsa_reserve_flat_scratch 0
		.amdhsa_float_round_mode_32 0
		.amdhsa_float_round_mode_16_64 0
		.amdhsa_float_denorm_mode_32 3
		.amdhsa_float_denorm_mode_16_64 3
		.amdhsa_dx10_clamp 1
		.amdhsa_ieee_mode 1
		.amdhsa_fp16_overflow 0
		.amdhsa_exception_fp_ieee_invalid_op 0
		.amdhsa_exception_fp_denorm_src 0
		.amdhsa_exception_fp_ieee_div_zero 0
		.amdhsa_exception_fp_ieee_overflow 0
		.amdhsa_exception_fp_ieee_underflow 0
		.amdhsa_exception_fp_ieee_inexact 0
		.amdhsa_exception_int_div_zero 0
	.end_amdhsa_kernel
	.text
.Lfunc_end25:
	.size	naive_conv_ab_nonpacked_bwd_nchw_float_double_float, .Lfunc_end25-naive_conv_ab_nonpacked_bwd_nchw_float_double_float
                                        ; -- End function
	.set naive_conv_ab_nonpacked_bwd_nchw_float_double_float.num_vgpr, 20
	.set naive_conv_ab_nonpacked_bwd_nchw_float_double_float.num_agpr, 0
	.set naive_conv_ab_nonpacked_bwd_nchw_float_double_float.numbered_sgpr, 70
	.set naive_conv_ab_nonpacked_bwd_nchw_float_double_float.num_named_barrier, 0
	.set naive_conv_ab_nonpacked_bwd_nchw_float_double_float.private_seg_size, 0
	.set naive_conv_ab_nonpacked_bwd_nchw_float_double_float.uses_vcc, 1
	.set naive_conv_ab_nonpacked_bwd_nchw_float_double_float.uses_flat_scratch, 0
	.set naive_conv_ab_nonpacked_bwd_nchw_float_double_float.has_dyn_sized_stack, 0
	.set naive_conv_ab_nonpacked_bwd_nchw_float_double_float.has_recursion, 0
	.set naive_conv_ab_nonpacked_bwd_nchw_float_double_float.has_indirect_call, 0
	.section	.AMDGPU.csdata,"",@progbits
; Kernel info:
; codeLenInByte = 2056
; TotalNumSgprs: 74
; NumVgprs: 20
; ScratchSize: 0
; MemoryBound: 0
; FloatMode: 240
; IeeeMode: 1
; LDSByteSize: 0 bytes/workgroup (compile time only)
; SGPRBlocks: 9
; VGPRBlocks: 4
; NumSGPRsForWavesPerEU: 74
; NumVGPRsForWavesPerEU: 20
; Occupancy: 10
; WaveLimiterHint : 0
; COMPUTE_PGM_RSRC2:SCRATCH_EN: 0
; COMPUTE_PGM_RSRC2:USER_SGPR: 6
; COMPUTE_PGM_RSRC2:TRAP_HANDLER: 0
; COMPUTE_PGM_RSRC2:TGID_X_EN: 1
; COMPUTE_PGM_RSRC2:TGID_Y_EN: 0
; COMPUTE_PGM_RSRC2:TGID_Z_EN: 0
; COMPUTE_PGM_RSRC2:TIDIG_COMP_CNT: 0
	.text
	.protected	naive_conv_ab_packed_bwd_nchw_half_double_half ; -- Begin function naive_conv_ab_packed_bwd_nchw_half_double_half
	.globl	naive_conv_ab_packed_bwd_nchw_half_double_half
	.p2align	8
	.type	naive_conv_ab_packed_bwd_nchw_half_double_half,@function
naive_conv_ab_packed_bwd_nchw_half_double_half: ; @naive_conv_ab_packed_bwd_nchw_half_double_half
; %bb.0:
	s_load_dwordx16 s[8:23], s[4:5], 0xa0
	s_abs_i32 s2, s6
	s_waitcnt lgkmcnt(0)
	s_abs_i32 s0, s12
	v_cvt_f32_u32_e32 v1, s0
	s_sub_i32 s1, 0, s0
	s_mul_i32 s33, s12, s10
	v_rcp_iflag_f32_e32 v1, v1
	v_mul_f32_e32 v1, 0x4f7ffffe, v1
	v_cvt_u32_f32_e32 v1, v1
	v_readfirstlane_b32 s3, v1
	s_mul_i32 s1, s1, s3
	s_mul_hi_u32 s1, s3, s1
	s_add_i32 s3, s3, s1
	s_mul_hi_u32 s1, s2, s3
	s_mul_i32 s3, s1, s0
	s_sub_i32 s3, s2, s3
	s_add_i32 s7, s1, 1
	s_sub_i32 s24, s3, s0
	s_cmp_ge_u32 s3, s0
	s_cselect_b32 s1, s7, s1
	s_cselect_b32 s3, s24, s3
	s_add_i32 s7, s1, 1
	s_cmp_ge_u32 s3, s0
	s_cselect_b32 s35, s7, s1
	s_abs_i32 s7, s10
	s_abs_i32 s3, s33
	v_cvt_f32_u32_e32 v1, s7
	v_cvt_f32_u32_e32 v2, s3
	s_mul_i32 s10, s9, s8
	v_cmp_gt_i32_e32 vcc, s10, v0
	v_rcp_iflag_f32_e32 v1, v1
	v_rcp_iflag_f32_e32 v2, v2
	v_mul_f32_e32 v1, 0x4f7ffffe, v1
	v_mul_f32_e32 v2, 0x4f7ffffe, v2
	v_cvt_u32_f32_e32 v1, v1
	v_cvt_u32_f32_e32 v2, v2
	v_readfirstlane_b32 s37, v1
	v_readfirstlane_b32 s36, v2
	s_and_saveexec_b64 s[0:1], vcc
	s_cbranch_execz .LBB26_31
; %bb.1:
	s_ashr_i32 s38, s6, 31
	s_ashr_i32 s34, s12, 31
	s_xor_b32 s39, s38, s34
	s_sub_i32 s41, 0, s7
	s_xor_b32 s35, s35, s39
	s_mul_i32 s41, s41, s37
	s_sub_i32 s35, s35, s39
	s_mul_hi_u32 s41, s37, s41
	s_abs_i32 s40, s35
	s_add_i32 s37, s37, s41
	s_mul_hi_u32 s37, s40, s37
	s_sub_i32 s41, 0, s3
	s_ashr_i32 s39, s35, 31
	s_mul_i32 s41, s41, s36
	s_mul_i32 s35, s35, s12
	;; [unrolled: 1-line block ×3, first 2 shown]
	s_mul_hi_u32 s41, s36, s41
	s_sub_i32 s35, s6, s35
	s_sub_i32 s6, s40, s37
	s_ashr_i32 s33, s33, 31
	s_add_i32 s36, s36, s41
	s_sub_i32 s37, s6, s7
	s_cmp_ge_u32 s6, s7
	s_cselect_b32 s6, s37, s6
	s_sub_i32 s37, s6, s7
	s_mul_hi_u32 s36, s2, s36
	s_cmp_ge_u32 s6, s7
	s_cselect_b32 s6, s37, s6
	s_xor_b32 s7, s38, s33
	s_mul_i32 s33, s36, s3
	s_xor_b32 s6, s6, s39
	s_sub_i32 s2, s2, s33
	s_sub_i32 s6, s6, s39
	s_add_i32 s33, s36, 1
	s_sub_i32 s37, s2, s3
	s_cmp_ge_u32 s2, s3
	s_cselect_b32 s33, s33, s36
	s_cselect_b32 s2, s37, s2
	s_add_i32 s36, s33, 1
	s_cmp_ge_u32 s2, s3
	s_cselect_b32 s2, s36, s33
	s_mul_i32 s41, s23, s11
	s_mul_i32 s23, s23, s12
	s_xor_b32 s2, s2, s7
	s_sub_i32 s7, s2, s7
	s_mul_i32 s3, s6, s23
	s_ashr_i32 s33, s9, 31
	s_ashr_i32 s37, s35, 31
	s_mul_hi_i32 s2, s6, s23
	s_add_u32 s3, s3, s35
	s_mul_i32 s36, s7, s12
	s_addc_u32 s2, s2, s37
	s_mul_hi_i32 s23, s7, s12
	s_add_u32 s36, s3, s36
	s_addc_u32 s2, s2, s23
	s_load_dwordx8 s[24:31], s[4:5], 0x0
	s_load_dwordx2 s[0:1], s[4:5], 0x20
	s_mul_hi_i32 s3, s9, s8
	s_mul_i32 s2, s10, s2
	s_mul_hi_u32 s8, s10, s36
	s_add_i32 s2, s8, s2
	s_mul_i32 s3, s3, s36
	s_add_i32 s3, s2, s3
	s_mul_i32 s2, s10, s36
	s_lshl_b64 s[2:3], s[2:3], 1
	s_waitcnt lgkmcnt(0)
	s_add_u32 s43, s24, s2
	s_mul_hi_i32 s2, s7, s11
	s_mul_i32 s7, s7, s11
	s_addc_u32 s44, s25, s3
	s_mul_i32 s3, s7, s34
	s_mul_hi_u32 s8, s7, s12
	s_add_i32 s3, s8, s3
	s_mul_i32 s8, s2, s12
	s_add_i32 s36, s3, s8
	s_ashr_i32 s23, s22, 31
	s_mul_hi_i32 s3, s6, s41
	s_mul_i32 s6, s6, s41
	s_ashr_i32 s45, s13, 31
	s_ashr_i32 s46, s14, 31
	s_add_u32 s6, s7, s6
	s_addc_u32 s2, s2, s3
	s_mul_i32 s8, s14, s13
	s_mul_hi_i32 s3, s14, s13
	s_mul_i32 s2, s8, s2
	s_mul_hi_u32 s24, s8, s6
	s_add_i32 s2, s24, s2
	s_mul_i32 s3, s3, s6
	s_add_i32 s3, s2, s3
	s_mul_i32 s2, s8, s6
	s_lshl_b64 s[2:3], s[2:3], 1
	s_add_u32 s47, s0, s2
	s_addc_u32 s48, s1, s3
	s_cmp_gt_i32 s11, 0
	s_cselect_b64 s[0:1], -1, 0
	s_cmp_gt_i32 s21, 0
	s_cselect_b64 s[2:3], -1, 0
	s_cmp_gt_i32 s22, 0
	s_load_dword s38, s[4:5], 0xec
	s_cselect_b64 s[4:5], -1, 0
	s_abs_i32 s49, s9
	v_cvt_f32_u32_e32 v1, s49
	s_abs_i32 s53, s15
	v_cvt_f32_u32_e32 v2, s53
	;; [unrolled: 2-line block ×3, first 2 shown]
	v_rcp_iflag_f32_e32 v1, v1
	v_rcp_iflag_f32_e32 v2, v2
	s_mov_b32 s42, s9
	v_cmp_neq_f64_e64 s[24:25], s[28:29], 1.0
	v_cmp_neq_f64_e64 s[8:9], s[30:31], 0
	v_rcp_iflag_f32_e32 v3, v3
	v_mul_f32_e32 v1, 0x4f7ffffe, v1
	v_cvt_u32_f32_e32 v1, v1
	v_mul_f32_e32 v2, 0x4f7ffffe, v2
	v_cvt_u32_f32_e32 v2, v2
	v_mul_f32_e32 v3, 0x4f7ffffe, v3
	s_mov_b32 s51, s13
	s_sub_i32 s13, 0, s49
	v_cvt_u32_f32_e32 v3, v3
	v_mul_lo_u32 v4, s13, v1
	s_sub_i32 s13, 0, s53
	s_mul_i32 s39, s7, s12
	s_or_b64 s[8:9], s[24:25], s[8:9]
	v_mul_lo_u32 v5, s13, v2
	s_sub_i32 s13, 0, s54
	s_waitcnt lgkmcnt(0)
	s_and_b32 s55, s38, 0xffff
	s_ashr_i32 s56, s15, 31
	s_ashr_i32 s16, s16, 31
	v_mul_lo_u32 v7, s13, v3
	s_add_u32 s13, s39, s35
	s_mov_b32 s52, s14
	v_mul_hi_u32 v4, v1, v4
	s_addc_u32 s14, s36, s37
	s_mul_i32 s24, s22, s21
	s_mov_b32 s50, s21
	s_mul_i32 s14, s24, s14
	s_mul_hi_u32 s15, s24, s13
	s_mul_hi_i32 s21, s22, s21
	s_add_i32 s14, s15, s14
	s_mul_i32 s15, s21, s13
	s_add_i32 s15, s14, s15
	s_mul_i32 s14, s24, s13
	v_mul_hi_u32 v5, v2, v5
	v_add_u32_e32 v6, v1, v4
	v_mul_hi_u32 v1, v3, v7
	s_lshl_b64 s[14:15], s[14:15], 1
	s_add_u32 s14, s26, s14
	s_mul_i32 s13, s24, s34
	s_mul_hi_u32 s25, s24, s12
	s_addc_u32 s15, s27, s15
	s_add_i32 s13, s25, s13
	s_mul_i32 s21, s21, s12
	s_add_i32 s13, s13, s21
	s_mul_i32 s12, s24, s12
	s_mov_b64 s[6:7], 0
	v_add_u32_e32 v7, v2, v5
	v_add_u32_e32 v8, v3, v1
	s_lshl_b64 s[12:13], s[12:13], 1
	s_lshl_b64 s[24:25], s[22:23], 1
	s_movk_i32 s21, 0x1ff
	s_movk_i32 s23, 0xffe
	s_movk_i32 s57, 0x40f
	s_mov_b32 s58, 0x8000
	v_mov_b32_e32 v9, 0x7c00
	v_mov_b32_e32 v10, 0x7e00
	s_branch .LBB26_3
.LBB26_2:                               ;   in Loop: Header=BB26_3 Depth=1
	v_add_u32_e32 v0, s55, v0
	v_cmp_le_i32_e32 vcc, s10, v0
	s_or_b64 s[6:7], vcc, s[6:7]
	s_andn2_b64 exec, exec, s[6:7]
	s_cbranch_execz .LBB26_31
.LBB26_3:                               ; =>This Loop Header: Depth=1
                                        ;     Child Loop BB26_6 Depth 2
                                        ;       Child Loop BB26_9 Depth 3
                                        ;         Child Loop BB26_18 Depth 4
	v_sub_u32_e32 v1, 0, v0
	v_max_i32_e32 v1, v0, v1
	v_mul_hi_u32 v2, v1, v6
	v_ashrrev_i32_e32 v4, 31, v0
	v_xor_b32_e32 v4, s33, v4
	v_mul_lo_u32 v3, v2, s49
	v_add_u32_e32 v5, 1, v2
	v_sub_u32_e32 v1, v1, v3
	v_cmp_le_u32_e32 vcc, s49, v1
	v_subrev_u32_e32 v3, s49, v1
	v_cndmask_b32_e32 v2, v2, v5, vcc
	v_cndmask_b32_e32 v1, v1, v3, vcc
	v_add_u32_e32 v3, 1, v2
	v_cmp_le_u32_e32 vcc, s49, v1
	v_cndmask_b32_e32 v1, v2, v3, vcc
	v_xor_b32_e32 v1, v1, v4
	v_sub_u32_e32 v11, v1, v4
	v_mul_lo_u32 v1, v11, s42
	s_andn2_b64 vcc, exec, s[0:1]
	v_sub_u32_e32 v3, v0, v1
	s_cbranch_vccnz .LBB26_26
; %bb.4:                                ;   in Loop: Header=BB26_3 Depth=1
	v_mov_b32_e32 v1, 0
	v_add_u32_e32 v12, s20, v3
	v_mov_b32_e32 v2, 0
	s_mov_b32 s59, 0
	s_mov_b64 s[26:27], s[14:15]
	s_branch .LBB26_6
.LBB26_5:                               ;   in Loop: Header=BB26_6 Depth=2
	s_add_i32 s59, s59, 1
	s_add_u32 s26, s26, s12
	s_addc_u32 s27, s27, s13
	s_cmp_eq_u32 s59, s11
	s_cbranch_scc1 .LBB26_27
.LBB26_6:                               ;   Parent Loop BB26_3 Depth=1
                                        ; =>  This Loop Header: Depth=2
                                        ;       Child Loop BB26_9 Depth 3
                                        ;         Child Loop BB26_18 Depth 4
	s_andn2_b64 vcc, exec, s[2:3]
	s_cbranch_vccnz .LBB26_5
; %bb.7:                                ;   in Loop: Header=BB26_6 Depth=2
	s_mul_i32 s34, s59, s45
	s_mul_hi_u32 s35, s59, s51
	s_add_i32 s60, s35, s34
	s_mov_b32 s61, 0
	s_mov_b64 s[34:35], s[26:27]
	s_branch .LBB26_9
.LBB26_8:                               ;   in Loop: Header=BB26_9 Depth=3
	s_add_i32 s61, s61, 1
	s_add_u32 s34, s34, s24
	s_addc_u32 s35, s35, s25
	s_cmp_eq_u32 s61, s50
	s_cbranch_scc1 .LBB26_5
.LBB26_9:                               ;   Parent Loop BB26_3 Depth=1
                                        ;     Parent Loop BB26_6 Depth=2
                                        ; =>    This Loop Header: Depth=3
                                        ;         Child Loop BB26_18 Depth 4
	s_mul_i32 s36, s17, s61
	v_add_u32_e32 v4, s19, v11
	v_subrev_u32_e32 v15, s36, v4
	v_cmp_lt_i32_e32 vcc, -1, v15
	s_mov_b64 s[36:37], 0
                                        ; implicit-def: $vgpr13
                                        ; implicit-def: $vgpr4
                                        ; implicit-def: $vgpr5
                                        ; implicit-def: $vgpr14
	s_and_saveexec_b64 s[38:39], vcc
	s_xor_b64 s[38:39], exec, s[38:39]
	s_cbranch_execnz .LBB26_13
; %bb.10:                               ;   in Loop: Header=BB26_9 Depth=3
	s_andn2_saveexec_b64 s[38:39], s[38:39]
	s_cbranch_execnz .LBB26_14
.LBB26_11:                              ;   in Loop: Header=BB26_9 Depth=3
	s_or_b64 exec, exec, s[38:39]
	v_mov_b32_e32 v15, 1
	s_and_saveexec_b64 s[38:39], s[36:37]
	s_cbranch_execnz .LBB26_15
.LBB26_12:                              ;   in Loop: Header=BB26_9 Depth=3
	s_or_b64 exec, exec, s[38:39]
	s_andn2_b64 vcc, exec, s[4:5]
	s_cbranch_vccz .LBB26_16
	s_branch .LBB26_8
.LBB26_13:                              ;   in Loop: Header=BB26_9 Depth=3
	v_sub_u32_e32 v4, 0, v15
	v_max_i32_e32 v5, v15, v4
	v_mul_hi_u32 v4, v5, v7
	v_ashrrev_i32_e32 v13, 31, v15
	v_mul_lo_u32 v14, v4, s53
	v_sub_u32_e32 v5, v5, v14
	v_subrev_u32_e32 v14, s53, v5
	v_cmp_le_u32_e32 vcc, s53, v5
	v_cndmask_b32_e32 v15, v5, v14, vcc
	v_subrev_u32_e32 v16, s53, v15
	v_cmp_le_u32_e32 vcc, s53, v15
	v_cndmask_b32_e32 v15, v15, v16, vcc
	v_xor_b32_e32 v15, v15, v13
	v_sub_u32_e32 v15, v15, v13
	v_cmp_ne_u32_e32 vcc, 0, v15
	s_and_b64 s[36:37], vcc, exec
                                        ; implicit-def: $vgpr15
	s_andn2_saveexec_b64 s[38:39], s[38:39]
	s_cbranch_execz .LBB26_11
.LBB26_14:                              ;   in Loop: Header=BB26_9 Depth=3
	v_sub_u32_e32 v4, 0, v15
	v_max_i32_e32 v5, v15, v4
	v_mul_hi_u32 v4, v5, v7
	v_ashrrev_i32_e32 v13, 31, v15
	s_or_b64 s[36:37], s[36:37], exec
	v_mul_lo_u32 v14, v4, s53
	v_sub_u32_e32 v5, v5, v14
	v_subrev_u32_e32 v14, s53, v5
	s_or_b64 exec, exec, s[38:39]
	v_mov_b32_e32 v15, 1
	s_and_saveexec_b64 s[38:39], s[36:37]
	s_cbranch_execz .LBB26_12
.LBB26_15:                              ;   in Loop: Header=BB26_9 Depth=3
	v_mov_b32_e32 v15, 0
	s_or_b64 exec, exec, s[38:39]
	s_andn2_b64 vcc, exec, s[4:5]
	s_cbranch_vccnz .LBB26_8
.LBB26_16:                              ;   in Loop: Header=BB26_9 Depth=3
	v_add_u32_e32 v16, 1, v4
	v_cmp_le_u32_e32 vcc, s53, v5
	v_cndmask_b32_e32 v4, v4, v16, vcc
	v_cndmask_b32_e32 v5, v5, v14, vcc
	v_add_u32_e32 v14, 1, v4
	v_cmp_le_u32_e32 vcc, s53, v5
	v_xor_b32_e32 v13, s56, v13
	v_cndmask_b32_e32 v4, v4, v14, vcc
	v_xor_b32_e32 v4, v4, v13
	v_sub_u32_e32 v13, v4, v13
	s_mul_i32 s36, s59, s51
	v_ashrrev_i32_e32 v4, 31, v13
	v_mov_b32_e32 v5, s60
	v_add_co_u32_e32 v14, vcc, s36, v13
	v_addc_co_u32_e32 v4, vcc, v5, v4, vcc
	v_mul_lo_u32 v16, v4, s52
	v_mul_lo_u32 v17, v14, s46
	v_mad_u64_u32 v[4:5], s[36:37], v14, s52, 0
	v_cmp_gt_i32_e32 vcc, s51, v13
	v_cndmask_b32_e32 v13, 0, v15, vcc
	v_add3_u32 v5, v5, v17, v16
	v_lshlrev_b64 v[4:5], 1, v[4:5]
	v_mov_b32_e32 v15, s48
	v_add_co_u32_e32 v14, vcc, s47, v4
	v_addc_co_u32_e32 v15, vcc, v15, v5, vcc
	s_mov_b64 s[36:37], s[34:35]
	s_mov_b32 s62, s22
	v_mov_b32_e32 v16, v12
	s_branch .LBB26_18
.LBB26_17:                              ;   in Loop: Header=BB26_18 Depth=4
	s_or_b64 exec, exec, s[38:39]
	s_add_i32 s62, s62, -1
	s_add_u32 s36, s36, 2
	s_addc_u32 s37, s37, 0
	s_cmp_eq_u32 s62, 0
	v_subrev_u32_e32 v16, s18, v16
	s_cbranch_scc1 .LBB26_8
.LBB26_18:                              ;   Parent Loop BB26_3 Depth=1
                                        ;     Parent Loop BB26_6 Depth=2
                                        ;       Parent Loop BB26_9 Depth=3
                                        ; =>      This Inner Loop Header: Depth=4
	v_cmp_lt_i32_e32 vcc, -1, v16
	s_mov_b64 s[38:39], 0
	v_sub_u32_e32 v19, 0, v16
                                        ; implicit-def: $vgpr17
                                        ; implicit-def: $vgpr4
                                        ; implicit-def: $vgpr5
                                        ; implicit-def: $vgpr18
	s_and_saveexec_b64 s[40:41], vcc
	s_xor_b64 s[40:41], exec, s[40:41]
	s_cbranch_execnz .LBB26_24
; %bb.19:                               ;   in Loop: Header=BB26_18 Depth=4
	s_andn2_saveexec_b64 s[40:41], s[40:41]
	s_cbranch_execnz .LBB26_25
.LBB26_20:                              ;   in Loop: Header=BB26_18 Depth=4
	s_or_b64 exec, exec, s[40:41]
	v_mov_b32_e32 v19, 1
	s_and_saveexec_b64 s[40:41], s[38:39]
.LBB26_21:                              ;   in Loop: Header=BB26_18 Depth=4
	v_mov_b32_e32 v19, 0
.LBB26_22:                              ;   in Loop: Header=BB26_18 Depth=4
	s_or_b64 exec, exec, s[40:41]
	v_add_u32_e32 v20, 1, v4
	v_cmp_le_u32_e32 vcc, s54, v5
	v_cndmask_b32_e32 v4, v4, v20, vcc
	v_cndmask_b32_e32 v5, v5, v18, vcc
	v_add_u32_e32 v18, 1, v4
	v_cmp_le_u32_e32 vcc, s54, v5
	v_xor_b32_e32 v17, s16, v17
	v_cndmask_b32_e32 v4, v4, v18, vcc
	v_xor_b32_e32 v4, v4, v17
	v_sub_u32_e32 v4, v4, v17
	v_cmp_gt_i32_e32 vcc, s52, v4
	v_cndmask_b32_e32 v5, 0, v19, vcc
	v_and_b32_e32 v5, v5, v13
	v_and_b32_e32 v5, 1, v5
	v_cmp_eq_u32_e32 vcc, 1, v5
	s_and_saveexec_b64 s[38:39], vcc
	s_cbranch_execz .LBB26_17
; %bb.23:                               ;   in Loop: Header=BB26_18 Depth=4
	v_ashrrev_i32_e32 v5, 31, v4
	v_lshlrev_b64 v[4:5], 1, v[4:5]
	v_add_co_u32_e32 v4, vcc, v14, v4
	v_addc_co_u32_e32 v5, vcc, v15, v5, vcc
	global_load_ushort v4, v[4:5], off
	v_mov_b32_e32 v5, 0
	global_load_ushort v5, v5, s[36:37]
	s_waitcnt vmcnt(1)
	v_cvt_f32_f16_e32 v4, v4
	s_waitcnt vmcnt(0)
	v_cvt_f32_f16_e32 v17, v5
	v_cvt_f64_f32_e32 v[4:5], v4
	v_cvt_f64_f32_e32 v[17:18], v17
	v_fma_f64 v[1:2], v[4:5], v[17:18], v[1:2]
	s_branch .LBB26_17
.LBB26_24:                              ;   in Loop: Header=BB26_18 Depth=4
	v_max_i32_e32 v5, v16, v19
	v_mul_hi_u32 v4, v5, v8
	v_ashrrev_i32_e32 v17, 31, v16
	v_mul_lo_u32 v18, v4, s54
	v_sub_u32_e32 v5, v5, v18
	v_subrev_u32_e32 v18, s54, v5
	v_cmp_le_u32_e32 vcc, s54, v5
	v_cndmask_b32_e32 v19, v5, v18, vcc
	v_subrev_u32_e32 v20, s54, v19
	v_cmp_le_u32_e32 vcc, s54, v19
	v_cndmask_b32_e32 v19, v19, v20, vcc
	v_xor_b32_e32 v19, v19, v17
	v_sub_u32_e32 v19, v19, v17
	v_cmp_ne_u32_e32 vcc, 0, v19
	s_and_b64 s[38:39], vcc, exec
                                        ; implicit-def: $vgpr19
	s_andn2_saveexec_b64 s[40:41], s[40:41]
	s_cbranch_execz .LBB26_20
.LBB26_25:                              ;   in Loop: Header=BB26_18 Depth=4
	v_max_i32_e32 v5, v16, v19
	v_mul_hi_u32 v4, v5, v8
	v_ashrrev_i32_e32 v17, 31, v16
	s_or_b64 s[38:39], s[38:39], exec
	v_mul_lo_u32 v18, v4, s54
	v_sub_u32_e32 v5, v5, v18
	v_subrev_u32_e32 v18, s54, v5
	s_or_b64 exec, exec, s[40:41]
	v_mov_b32_e32 v19, 1
	s_and_saveexec_b64 s[40:41], s[38:39]
	s_cbranch_execnz .LBB26_21
	s_branch .LBB26_22
.LBB26_26:                              ;   in Loop: Header=BB26_3 Depth=1
	v_mov_b32_e32 v1, 0
	v_mov_b32_e32 v2, 0
.LBB26_27:                              ;   in Loop: Header=BB26_3 Depth=1
	v_ashrrev_i32_e32 v4, 31, v3
	v_mad_i64_i32 v[3:4], s[26:27], v11, s42, v[3:4]
	s_mov_b64 s[26:27], -1
	s_and_b64 vcc, exec, s[8:9]
	s_cbranch_vccz .LBB26_29
; %bb.28:                               ;   in Loop: Header=BB26_3 Depth=1
	v_lshlrev_b64 v[11:12], 1, v[3:4]
	v_mov_b32_e32 v5, s44
	v_add_co_u32_e32 v11, vcc, s43, v11
	v_addc_co_u32_e32 v12, vcc, v5, v12, vcc
	global_load_ushort v5, v[11:12], off
	s_mov_b64 s[26:27], 0
	s_waitcnt vmcnt(0)
	v_cvt_f32_f16_e32 v5, v5
	v_cvt_f64_f32_e32 v[13:14], v5
	v_mul_f64 v[13:14], s[30:31], v[13:14]
	v_fma_f64 v[13:14], s[28:29], v[1:2], v[13:14]
	v_and_or_b32 v5, v14, s21, v13
	v_cmp_ne_u32_e32 vcc, 0, v5
	v_lshrrev_b32_e32 v13, 8, v14
	v_bfe_u32 v15, v14, 20, 11
	v_cndmask_b32_e64 v5, 0, 1, vcc
	v_sub_u32_e32 v16, 0x3f1, v15
	v_and_or_b32 v5, v13, s23, v5
	v_med3_i32 v13, v16, 0, 13
	v_or_b32_e32 v16, 0x1000, v5
	v_lshrrev_b32_e32 v18, v13, v16
	v_add_u32_e32 v15, 0xfffffc10, v15
	v_cmp_ne_u32_e32 vcc, 0, v5
	v_lshlrev_b32_e32 v13, v13, v18
	v_lshl_or_b32 v17, v15, 12, v5
	v_cndmask_b32_e32 v5, v9, v10, vcc
	v_cmp_ne_u32_e32 vcc, v13, v16
	v_cndmask_b32_e64 v13, 0, 1, vcc
	v_or_b32_e32 v13, v18, v13
	v_cmp_gt_i32_e32 vcc, 1, v15
	v_cndmask_b32_e32 v13, v17, v13, vcc
	v_and_b32_e32 v16, 7, v13
	v_cmp_lt_i32_e32 vcc, 5, v16
	v_cndmask_b32_e64 v17, 0, 1, vcc
	v_cmp_eq_u32_e32 vcc, 3, v16
	v_cndmask_b32_e64 v16, 0, 1, vcc
	v_lshrrev_b32_e32 v13, 2, v13
	v_or_b32_e32 v16, v16, v17
	v_add_u32_e32 v13, v13, v16
	v_cmp_gt_i32_e32 vcc, 31, v15
	v_cndmask_b32_e32 v13, v9, v13, vcc
	v_cmp_eq_u32_e32 vcc, s57, v15
	v_lshrrev_b32_e32 v14, 16, v14
	v_cndmask_b32_e32 v5, v13, v5, vcc
	v_and_or_b32 v5, v14, s58, v5
	global_store_short v[11:12], v5, off
.LBB26_29:                              ;   in Loop: Header=BB26_3 Depth=1
	s_andn2_b64 vcc, exec, s[26:27]
	s_cbranch_vccnz .LBB26_2
; %bb.30:                               ;   in Loop: Header=BB26_3 Depth=1
	v_and_or_b32 v1, v2, s21, v1
	v_cmp_ne_u32_e32 vcc, 0, v1
	v_cndmask_b32_e64 v1, 0, 1, vcc
	v_lshrrev_b32_e32 v5, 8, v2
	v_bfe_u32 v11, v2, 20, 11
	v_and_or_b32 v1, v5, s23, v1
	v_sub_u32_e32 v12, 0x3f1, v11
	v_or_b32_e32 v5, 0x1000, v1
	v_med3_i32 v12, v12, 0, 13
	v_lshrrev_b32_e32 v13, v12, v5
	v_lshlrev_b32_e32 v12, v12, v13
	v_cmp_ne_u32_e32 vcc, v12, v5
	v_cndmask_b32_e64 v5, 0, 1, vcc
	v_add_u32_e32 v11, 0xfffffc10, v11
	v_or_b32_e32 v5, v13, v5
	v_lshl_or_b32 v12, v11, 12, v1
	v_cmp_gt_i32_e32 vcc, 1, v11
	v_cndmask_b32_e32 v5, v12, v5, vcc
	v_and_b32_e32 v12, 7, v5
	v_cmp_lt_i32_e32 vcc, 5, v12
	v_cndmask_b32_e64 v13, 0, 1, vcc
	v_cmp_eq_u32_e32 vcc, 3, v12
	v_cndmask_b32_e64 v12, 0, 1, vcc
	v_or_b32_e32 v12, v12, v13
	v_lshrrev_b32_e32 v5, 2, v5
	v_add_u32_e32 v5, v5, v12
	v_cmp_gt_i32_e32 vcc, 31, v11
	v_cndmask_b32_e32 v5, v9, v5, vcc
	v_cmp_ne_u32_e32 vcc, 0, v1
	v_cndmask_b32_e32 v1, v9, v10, vcc
	v_cmp_eq_u32_e32 vcc, s57, v11
	v_cndmask_b32_e32 v1, v5, v1, vcc
	v_lshrrev_b32_e32 v2, 16, v2
	v_and_or_b32 v5, v2, s58, v1
	v_lshlrev_b64 v[1:2], 1, v[3:4]
	v_mov_b32_e32 v3, s44
	v_add_co_u32_e32 v1, vcc, s43, v1
	v_addc_co_u32_e32 v2, vcc, v3, v2, vcc
	global_store_short v[1:2], v5, off
	s_branch .LBB26_2
.LBB26_31:
	s_endpgm
	.section	.rodata,"a",@progbits
	.p2align	6, 0x0
	.amdhsa_kernel naive_conv_ab_packed_bwd_nchw_half_double_half
		.amdhsa_group_segment_fixed_size 0
		.amdhsa_private_segment_fixed_size 0
		.amdhsa_kernarg_size 480
		.amdhsa_user_sgpr_count 6
		.amdhsa_user_sgpr_private_segment_buffer 1
		.amdhsa_user_sgpr_dispatch_ptr 0
		.amdhsa_user_sgpr_queue_ptr 0
		.amdhsa_user_sgpr_kernarg_segment_ptr 1
		.amdhsa_user_sgpr_dispatch_id 0
		.amdhsa_user_sgpr_flat_scratch_init 0
		.amdhsa_user_sgpr_private_segment_size 0
		.amdhsa_uses_dynamic_stack 0
		.amdhsa_system_sgpr_private_segment_wavefront_offset 0
		.amdhsa_system_sgpr_workgroup_id_x 1
		.amdhsa_system_sgpr_workgroup_id_y 0
		.amdhsa_system_sgpr_workgroup_id_z 0
		.amdhsa_system_sgpr_workgroup_info 0
		.amdhsa_system_vgpr_workitem_id 0
		.amdhsa_next_free_vgpr 21
		.amdhsa_next_free_sgpr 63
		.amdhsa_reserve_vcc 1
		.amdhsa_reserve_flat_scratch 0
		.amdhsa_float_round_mode_32 0
		.amdhsa_float_round_mode_16_64 0
		.amdhsa_float_denorm_mode_32 3
		.amdhsa_float_denorm_mode_16_64 3
		.amdhsa_dx10_clamp 1
		.amdhsa_ieee_mode 1
		.amdhsa_fp16_overflow 0
		.amdhsa_exception_fp_ieee_invalid_op 0
		.amdhsa_exception_fp_denorm_src 0
		.amdhsa_exception_fp_ieee_div_zero 0
		.amdhsa_exception_fp_ieee_overflow 0
		.amdhsa_exception_fp_ieee_underflow 0
		.amdhsa_exception_fp_ieee_inexact 0
		.amdhsa_exception_int_div_zero 0
	.end_amdhsa_kernel
	.text
.Lfunc_end26:
	.size	naive_conv_ab_packed_bwd_nchw_half_double_half, .Lfunc_end26-naive_conv_ab_packed_bwd_nchw_half_double_half
                                        ; -- End function
	.set naive_conv_ab_packed_bwd_nchw_half_double_half.num_vgpr, 21
	.set naive_conv_ab_packed_bwd_nchw_half_double_half.num_agpr, 0
	.set naive_conv_ab_packed_bwd_nchw_half_double_half.numbered_sgpr, 63
	.set naive_conv_ab_packed_bwd_nchw_half_double_half.num_named_barrier, 0
	.set naive_conv_ab_packed_bwd_nchw_half_double_half.private_seg_size, 0
	.set naive_conv_ab_packed_bwd_nchw_half_double_half.uses_vcc, 1
	.set naive_conv_ab_packed_bwd_nchw_half_double_half.uses_flat_scratch, 0
	.set naive_conv_ab_packed_bwd_nchw_half_double_half.has_dyn_sized_stack, 0
	.set naive_conv_ab_packed_bwd_nchw_half_double_half.has_recursion, 0
	.set naive_conv_ab_packed_bwd_nchw_half_double_half.has_indirect_call, 0
	.section	.AMDGPU.csdata,"",@progbits
; Kernel info:
; codeLenInByte = 2372
; TotalNumSgprs: 67
; NumVgprs: 21
; ScratchSize: 0
; MemoryBound: 0
; FloatMode: 240
; IeeeMode: 1
; LDSByteSize: 0 bytes/workgroup (compile time only)
; SGPRBlocks: 8
; VGPRBlocks: 5
; NumSGPRsForWavesPerEU: 67
; NumVGPRsForWavesPerEU: 21
; Occupancy: 10
; WaveLimiterHint : 0
; COMPUTE_PGM_RSRC2:SCRATCH_EN: 0
; COMPUTE_PGM_RSRC2:USER_SGPR: 6
; COMPUTE_PGM_RSRC2:TRAP_HANDLER: 0
; COMPUTE_PGM_RSRC2:TGID_X_EN: 1
; COMPUTE_PGM_RSRC2:TGID_Y_EN: 0
; COMPUTE_PGM_RSRC2:TGID_Z_EN: 0
; COMPUTE_PGM_RSRC2:TIDIG_COMP_CNT: 0
	.text
	.protected	naive_conv_ab_nonpacked_bwd_nchw_half_double_half ; -- Begin function naive_conv_ab_nonpacked_bwd_nchw_half_double_half
	.globl	naive_conv_ab_nonpacked_bwd_nchw_half_double_half
	.p2align	8
	.type	naive_conv_ab_nonpacked_bwd_nchw_half_double_half,@function
naive_conv_ab_nonpacked_bwd_nchw_half_double_half: ; @naive_conv_ab_nonpacked_bwd_nchw_half_double_half
; %bb.0:
	s_load_dwordx8 s[24:31], s[4:5], 0xa0
	s_abs_i32 s0, s6
	s_waitcnt lgkmcnt(0)
	s_abs_i32 s1, s28
	v_cvt_f32_u32_e32 v1, s1
	s_sub_i32 s2, 0, s1
	s_mul_i32 s3, s28, s26
	s_mul_i32 s24, s25, s24
	v_rcp_iflag_f32_e32 v1, v1
	v_cmp_gt_i32_e32 vcc, s24, v0
	v_mul_f32_e32 v1, 0x4f7ffffe, v1
	v_cvt_u32_f32_e32 v1, v1
	v_readfirstlane_b32 s7, v1
	s_mul_i32 s2, s2, s7
	s_mul_hi_u32 s2, s7, s2
	s_add_i32 s7, s7, s2
	s_mul_hi_u32 s2, s0, s7
	s_mul_i32 s7, s2, s1
	s_sub_i32 s7, s0, s7
	s_add_i32 s8, s2, 1
	s_sub_i32 s9, s7, s1
	s_cmp_ge_u32 s7, s1
	s_cselect_b32 s2, s8, s2
	s_cselect_b32 s7, s9, s7
	s_add_i32 s8, s2, 1
	s_cmp_ge_u32 s7, s1
	s_cselect_b32 s7, s8, s2
	s_abs_i32 s2, s26
	s_abs_i32 s1, s3
	v_cvt_f32_u32_e32 v1, s2
	v_cvt_f32_u32_e32 v2, s1
	v_rcp_iflag_f32_e32 v1, v1
	v_rcp_iflag_f32_e32 v2, v2
	v_mul_f32_e32 v1, 0x4f7ffffe, v1
	v_mul_f32_e32 v2, 0x4f7ffffe, v2
	v_cvt_u32_f32_e32 v1, v1
	v_cvt_u32_f32_e32 v2, v2
	v_readfirstlane_b32 s9, v1
	v_readfirstlane_b32 s8, v2
	s_and_saveexec_b64 s[10:11], vcc
	s_cbranch_execz .LBB27_31
; %bb.1:
	s_ashr_i32 s26, s6, 31
	s_ashr_i32 s10, s28, 31
	s_xor_b32 s10, s26, s10
	s_xor_b32 s7, s7, s10
	s_sub_i32 s7, s7, s10
	s_sub_i32 s10, 0, s2
	s_mul_i32 s10, s10, s9
	s_load_dwordx8 s[36:43], s[4:5], 0x0
	s_load_dwordx2 s[34:35], s[4:5], 0x20
	s_load_dwordx8 s[44:51], s[4:5], 0xc0
	s_mul_hi_u32 s10, s9, s10
	s_waitcnt lgkmcnt(0)
	s_abs_i32 s51, s7
	s_add_i32 s9, s9, s10
	s_mul_hi_u32 s52, s51, s9
	s_sub_i32 s9, 0, s1
	s_ashr_i32 s33, s7, 31
	s_mul_i32 s9, s9, s8
	s_mul_i32 s7, s7, s28
	;; [unrolled: 1-line block ×3, first 2 shown]
	s_mul_hi_u32 s9, s8, s9
	s_sub_i32 s54, s6, s7
	s_sub_i32 s6, s51, s52
	s_ashr_i32 s3, s3, 31
	s_add_i32 s8, s8, s9
	s_sub_i32 s7, s6, s2
	s_cmp_ge_u32 s6, s2
	s_cselect_b32 s6, s7, s6
	s_sub_i32 s7, s6, s2
	s_cmp_ge_u32 s6, s2
	s_cselect_b32 s2, s7, s6
	s_mul_hi_u32 s53, s0, s8
	s_xor_b32 s2, s2, s33
	s_sub_i32 s33, s2, s33
	s_xor_b32 s2, s26, s3
	s_mul_i32 s3, s53, s1
	s_sub_i32 s0, s0, s3
	s_add_i32 s3, s53, 1
	s_sub_i32 s6, s0, s1
	s_cmp_ge_u32 s0, s1
	s_cselect_b32 s3, s3, s53
	s_load_dwordx16 s[8:23], s[4:5], 0x28
	s_cselect_b32 s0, s6, s0
	s_add_i32 s6, s3, 1
	s_cmp_ge_u32 s0, s1
	s_cselect_b32 s0, s6, s3
	s_xor_b32 s0, s0, s2
	s_sub_i32 s60, s0, s2
	s_ashr_i32 s51, s33, 31
	s_waitcnt lgkmcnt(0)
	s_mul_i32 s0, s16, s51
	s_mul_hi_u32 s1, s16, s33
	s_ashr_i32 s61, s60, 31
	s_ashr_i32 s52, s54, 31
	s_add_i32 s0, s1, s0
	s_mul_i32 s1, s17, s33
	s_mul_i32 s2, s14, s61
	s_mul_hi_u32 s3, s14, s60
	s_mul_i32 s6, s12, s52
	s_mul_hi_u32 s7, s12, s54
	s_add_i32 s1, s0, s1
	s_mul_i32 s0, s16, s33
	s_add_i32 s2, s3, s2
	s_mul_i32 s3, s15, s60
	;; [unrolled: 2-line block ×3, first 2 shown]
	s_add_i32 s3, s2, s3
	s_add_i32 s7, s6, s7
	s_lshl_b64 s[0:1], s[0:1], 1
	s_mul_i32 s2, s14, s60
	s_add_u32 s6, s36, s0
	s_addc_u32 s13, s37, s1
	s_lshl_b64 s[0:1], s[2:3], 1
	s_add_u32 s16, s6, s0
	s_addc_u32 s13, s13, s1
	s_load_dwordx2 s[14:15], s[4:5], 0x98
	s_load_dwordx4 s[0:3], s[4:5], 0x88
	s_mul_i32 s6, s12, s54
	s_lshl_b64 s[6:7], s[6:7], 1
	s_add_u32 s26, s16, s6
	s_addc_u32 s28, s13, s7
	s_waitcnt lgkmcnt(0)
	s_mul_i32 s6, s14, s51
	s_mul_hi_u32 s7, s14, s33
	s_add_i32 s6, s7, s6
	s_mul_i32 s7, s15, s33
	s_mul_i32 s12, s2, s61
	s_mul_hi_u32 s13, s2, s60
	s_add_i32 s7, s6, s7
	s_mul_i32 s6, s14, s33
	s_add_i32 s12, s13, s12
	s_mul_i32 s3, s3, s60
	s_add_i32 s3, s12, s3
	s_lshl_b64 s[6:7], s[6:7], 1
	s_mul_i32 s2, s2, s60
	s_add_u32 s6, s34, s6
	s_addc_u32 s7, s35, s7
	s_lshl_b64 s[2:3], s[2:3], 1
	s_add_u32 s33, s6, s2
	s_addc_u32 s51, s7, s3
	v_cmp_neq_f64_e64 s[14:15], s[40:41], 1.0
	v_cmp_neq_f64_e64 s[16:17], s[42:43], 0
	s_cmp_gt_i32 s27, 0
	s_cselect_b64 s[2:3], -1, 0
	s_cmp_gt_i32 s49, 0
	s_cselect_b64 s[6:7], -1, 0
	;; [unrolled: 2-line block ×3, first 2 shown]
	s_abs_i32 s62, s25
	s_ashr_i32 s63, s31, 31
	s_abs_i32 s31, s31
	s_ashr_i32 s64, s44, 31
	s_abs_i32 s44, s44
	v_cvt_f32_u32_e32 v1, s62
	v_cvt_f32_u32_e32 v3, s31
	;; [unrolled: 1-line block ×3, first 2 shown]
	s_or_b64 s[14:15], s[14:15], s[16:17]
	s_mul_i32 s16, s22, s52
	s_mul_hi_u32 s17, s22, s54
	s_add_i32 s16, s17, s16
	s_mul_i32 s17, s23, s54
	v_rcp_iflag_f32_e32 v1, v1
	v_rcp_iflag_f32_e32 v3, v3
	;; [unrolled: 1-line block ×3, first 2 shown]
	s_add_i32 s17, s16, s17
	s_mul_i32 s16, s22, s54
	s_load_dword s22, s[4:5], 0xec
	s_load_dwordx8 s[52:59], s[4:5], 0x68
	v_mul_f32_e32 v1, 0x4f7ffffe, v1
	v_mul_f32_e32 v3, 0x4f7ffffe, v3
	;; [unrolled: 1-line block ×3, first 2 shown]
	v_cvt_u32_f32_e32 v1, v1
	v_cvt_u32_f32_e32 v3, v3
	;; [unrolled: 1-line block ×3, first 2 shown]
	s_waitcnt lgkmcnt(0)
	s_mul_i32 s4, s54, s61
	s_mul_hi_u32 s5, s54, s60
	s_add_i32 s4, s5, s4
	s_mul_i32 s5, s55, s60
	s_add_i32 s5, s4, s5
	s_mul_i32 s4, s54, s60
	s_and_b32 s60, s22, 0xffff
	s_sub_i32 s22, 0, s62
	s_sub_i32 s23, 0, s31
	;; [unrolled: 1-line block ×3, first 2 shown]
	v_mul_lo_u32 v2, s22, v1
	v_mul_lo_u32 v4, s23, v3
	;; [unrolled: 1-line block ×3, first 2 shown]
	s_lshl_b64 s[16:17], s[16:17], 1
	s_lshl_b64 s[4:5], s[4:5], 1
	s_ashr_i32 s61, s25, 31
	v_mul_hi_u32 v2, v1, v2
	v_mul_hi_u32 v4, v3, v4
	;; [unrolled: 1-line block ×3, first 2 shown]
	s_add_u32 s4, s16, s4
	s_addc_u32 s5, s17, s5
	s_add_u32 s4, s38, s4
	s_addc_u32 s5, s39, s5
	v_add_u32_e32 v5, v1, v2
	v_mov_b32_e32 v6, 0
	v_add_u32_e32 v7, v3, v4
	v_add_u32_e32 v8, v8, v9
	v_mov_b32_e32 v9, 0x7c00
	v_mov_b32_e32 v10, 0x7e00
	s_movk_i32 s65, 0x1ff
	s_movk_i32 s66, 0xffe
	s_movk_i32 s67, 0x40f
	s_mov_b32 s68, 0x8000
	s_mov_b64 s[16:17], 0
	s_lshl_b64 s[22:23], s[52:53], 1
	s_lshl_b64 s[20:21], s[20:21], 1
	;; [unrolled: 1-line block ×3, first 2 shown]
	s_branch .LBB27_3
.LBB27_2:                               ;   in Loop: Header=BB27_3 Depth=1
	v_add_u32_e32 v0, s60, v0
	v_cmp_le_i32_e32 vcc, s24, v0
	s_or_b64 s[16:17], vcc, s[16:17]
	s_andn2_b64 exec, exec, s[16:17]
	s_cbranch_execz .LBB27_31
.LBB27_3:                               ; =>This Loop Header: Depth=1
                                        ;     Child Loop BB27_6 Depth 2
                                        ;       Child Loop BB27_9 Depth 3
                                        ;         Child Loop BB27_18 Depth 4
	v_sub_u32_e32 v1, 0, v0
	v_max_i32_e32 v1, v0, v1
	v_mul_hi_u32 v2, v1, v5
	v_ashrrev_i32_e32 v4, 31, v0
	v_xor_b32_e32 v4, s61, v4
	v_mul_lo_u32 v3, v2, s62
	v_add_u32_e32 v11, 1, v2
	v_sub_u32_e32 v1, v1, v3
	v_cmp_le_u32_e32 vcc, s62, v1
	v_subrev_u32_e32 v3, s62, v1
	v_cndmask_b32_e32 v2, v2, v11, vcc
	v_cndmask_b32_e32 v1, v1, v3, vcc
	v_add_u32_e32 v3, 1, v2
	v_cmp_le_u32_e32 vcc, s62, v1
	v_cndmask_b32_e32 v1, v2, v3, vcc
	v_xor_b32_e32 v1, v1, v4
	v_sub_u32_e32 v3, v1, v4
	v_mul_lo_u32 v1, v3, s25
	s_andn2_b64 vcc, exec, s[2:3]
	v_sub_u32_e32 v11, v0, v1
	s_cbranch_vccnz .LBB27_26
; %bb.4:                                ;   in Loop: Header=BB27_3 Depth=1
	v_mov_b32_e32 v1, 0
	v_add_u32_e32 v4, s47, v3
	v_add_u32_e32 v12, s48, v11
	v_mov_b32_e32 v2, 0
	s_mov_b32 s69, 0
	s_mov_b64 s[34:35], s[4:5]
	s_branch .LBB27_6
.LBB27_5:                               ;   in Loop: Header=BB27_6 Depth=2
	s_add_i32 s69, s69, 1
	s_add_u32 s34, s34, s22
	s_addc_u32 s35, s35, s23
	s_cmp_eq_u32 s69, s27
	s_cbranch_scc1 .LBB27_27
.LBB27_6:                               ;   Parent Loop BB27_3 Depth=1
                                        ; =>  This Loop Header: Depth=2
                                        ;       Child Loop BB27_9 Depth 3
                                        ;         Child Loop BB27_18 Depth 4
	s_andn2_b64 vcc, exec, s[6:7]
	s_cbranch_vccnz .LBB27_5
; %bb.7:                                ;   in Loop: Header=BB27_6 Depth=2
	s_mul_i32 s36, s1, s69
	s_mul_hi_u32 s37, s0, s69
	s_add_i32 s37, s37, s36
	s_mul_i32 s36, s0, s69
	s_lshl_b64 s[36:37], s[36:37], 1
	s_add_u32 s70, s33, s36
	s_addc_u32 s71, s51, s37
	s_mov_b32 s72, 0
	s_mov_b64 s[36:37], s[34:35]
	s_branch .LBB27_9
.LBB27_8:                               ;   in Loop: Header=BB27_9 Depth=3
	s_add_i32 s72, s72, 1
	s_add_u32 s36, s36, s20
	s_addc_u32 s37, s37, s21
	s_cmp_eq_u32 s72, s49
	s_cbranch_scc1 .LBB27_5
.LBB27_9:                               ;   Parent Loop BB27_3 Depth=1
                                        ;     Parent Loop BB27_6 Depth=2
                                        ; =>    This Loop Header: Depth=3
                                        ;         Child Loop BB27_18 Depth 4
	s_mul_i32 s38, s45, s72
	v_subrev_u32_e32 v17, s38, v4
	v_cmp_lt_i32_e32 vcc, -1, v17
	s_mov_b64 s[38:39], 0
                                        ; implicit-def: $vgpr15
                                        ; implicit-def: $vgpr13
                                        ; implicit-def: $vgpr14
                                        ; implicit-def: $vgpr16
	s_and_saveexec_b64 s[52:53], vcc
	s_xor_b64 s[52:53], exec, s[52:53]
	s_cbranch_execnz .LBB27_13
; %bb.10:                               ;   in Loop: Header=BB27_9 Depth=3
	s_andn2_saveexec_b64 s[52:53], s[52:53]
	s_cbranch_execnz .LBB27_14
.LBB27_11:                              ;   in Loop: Header=BB27_9 Depth=3
	s_or_b64 exec, exec, s[52:53]
	v_mov_b32_e32 v17, 1
	s_and_saveexec_b64 s[52:53], s[38:39]
	s_cbranch_execnz .LBB27_15
.LBB27_12:                              ;   in Loop: Header=BB27_9 Depth=3
	s_or_b64 exec, exec, s[52:53]
	s_andn2_b64 vcc, exec, s[12:13]
	s_cbranch_vccz .LBB27_16
	s_branch .LBB27_8
.LBB27_13:                              ;   in Loop: Header=BB27_9 Depth=3
	v_sub_u32_e32 v13, 0, v17
	v_max_i32_e32 v14, v17, v13
	v_mul_hi_u32 v13, v14, v7
	v_ashrrev_i32_e32 v15, 31, v17
	v_mul_lo_u32 v16, v13, s31
	v_sub_u32_e32 v14, v14, v16
	v_subrev_u32_e32 v16, s31, v14
	v_cmp_le_u32_e32 vcc, s31, v14
	v_cndmask_b32_e32 v17, v14, v16, vcc
	v_subrev_u32_e32 v18, s31, v17
	v_cmp_le_u32_e32 vcc, s31, v17
	v_cndmask_b32_e32 v17, v17, v18, vcc
	v_xor_b32_e32 v17, v17, v15
	v_sub_u32_e32 v17, v17, v15
	v_cmp_ne_u32_e32 vcc, 0, v17
	s_and_b64 s[38:39], vcc, exec
                                        ; implicit-def: $vgpr17
	s_andn2_saveexec_b64 s[52:53], s[52:53]
	s_cbranch_execz .LBB27_11
.LBB27_14:                              ;   in Loop: Header=BB27_9 Depth=3
	v_sub_u32_e32 v13, 0, v17
	v_max_i32_e32 v14, v17, v13
	v_mul_hi_u32 v13, v14, v7
	v_ashrrev_i32_e32 v15, 31, v17
	s_or_b64 s[38:39], s[38:39], exec
	v_mul_lo_u32 v16, v13, s31
	v_sub_u32_e32 v14, v14, v16
	v_subrev_u32_e32 v16, s31, v14
	s_or_b64 exec, exec, s[52:53]
	v_mov_b32_e32 v17, 1
	s_and_saveexec_b64 s[52:53], s[38:39]
	s_cbranch_execz .LBB27_12
.LBB27_15:                              ;   in Loop: Header=BB27_9 Depth=3
	v_mov_b32_e32 v17, 0
	s_or_b64 exec, exec, s[52:53]
	s_andn2_b64 vcc, exec, s[12:13]
	s_cbranch_vccnz .LBB27_8
.LBB27_16:                              ;   in Loop: Header=BB27_9 Depth=3
	v_add_u32_e32 v18, 1, v13
	v_cmp_le_u32_e32 vcc, s31, v14
	v_cndmask_b32_e32 v13, v13, v18, vcc
	v_cndmask_b32_e32 v14, v14, v16, vcc
	v_add_u32_e32 v16, 1, v13
	v_cmp_le_u32_e32 vcc, s31, v14
	v_xor_b32_e32 v15, s63, v15
	v_cndmask_b32_e32 v13, v13, v16, vcc
	v_xor_b32_e32 v13, v13, v15
	v_sub_u32_e32 v13, v13, v15
	v_ashrrev_i32_e32 v14, 31, v13
	v_mul_lo_u32 v16, s58, v14
	v_mul_lo_u32 v18, s59, v13
	v_mad_u64_u32 v[14:15], s[38:39], s58, v13, 0
	v_cmp_gt_i32_e32 vcc, s29, v13
	v_cndmask_b32_e32 v13, 0, v17, vcc
	v_add3_u32 v15, v15, v16, v18
	v_lshlrev_b64 v[14:15], 1, v[14:15]
	v_mov_b32_e32 v16, s71
	v_add_co_u32_e32 v14, vcc, s70, v14
	v_addc_co_u32_e32 v15, vcc, v16, v15, vcc
	s_mov_b64 s[38:39], s[36:37]
	s_mov_b32 s73, s50
	v_mov_b32_e32 v16, v12
	s_branch .LBB27_18
.LBB27_17:                              ;   in Loop: Header=BB27_18 Depth=4
	s_or_b64 exec, exec, s[52:53]
	s_add_i32 s73, s73, -1
	s_add_u32 s38, s38, s18
	s_addc_u32 s39, s39, s19
	s_cmp_eq_u32 s73, 0
	v_subrev_u32_e32 v16, s46, v16
	s_cbranch_scc1 .LBB27_8
.LBB27_18:                              ;   Parent Loop BB27_3 Depth=1
                                        ;     Parent Loop BB27_6 Depth=2
                                        ;       Parent Loop BB27_9 Depth=3
                                        ; =>      This Inner Loop Header: Depth=4
	v_cmp_lt_i32_e32 vcc, -1, v16
	s_mov_b64 s[52:53], 0
	v_sub_u32_e32 v21, 0, v16
                                        ; implicit-def: $vgpr19
                                        ; implicit-def: $vgpr17
                                        ; implicit-def: $vgpr18
                                        ; implicit-def: $vgpr20
	s_and_saveexec_b64 s[54:55], vcc
	s_xor_b64 s[54:55], exec, s[54:55]
	s_cbranch_execnz .LBB27_24
; %bb.19:                               ;   in Loop: Header=BB27_18 Depth=4
	s_andn2_saveexec_b64 s[54:55], s[54:55]
	s_cbranch_execnz .LBB27_25
.LBB27_20:                              ;   in Loop: Header=BB27_18 Depth=4
	s_or_b64 exec, exec, s[54:55]
	v_mov_b32_e32 v21, 1
	s_and_saveexec_b64 s[54:55], s[52:53]
.LBB27_21:                              ;   in Loop: Header=BB27_18 Depth=4
	v_mov_b32_e32 v21, 0
.LBB27_22:                              ;   in Loop: Header=BB27_18 Depth=4
	s_or_b64 exec, exec, s[54:55]
	v_add_u32_e32 v22, 1, v17
	v_cmp_le_u32_e32 vcc, s44, v18
	v_cndmask_b32_e32 v17, v17, v22, vcc
	v_cndmask_b32_e32 v18, v18, v20, vcc
	v_add_u32_e32 v20, 1, v17
	v_cmp_le_u32_e32 vcc, s44, v18
	v_xor_b32_e32 v19, s64, v19
	v_cndmask_b32_e32 v17, v17, v20, vcc
	v_xor_b32_e32 v17, v17, v19
	v_sub_u32_e32 v17, v17, v19
	v_cmp_gt_i32_e32 vcc, s30, v17
	v_cndmask_b32_e32 v18, 0, v21, vcc
	v_and_b32_e32 v18, v18, v13
	v_and_b32_e32 v18, 1, v18
	v_cmp_eq_u32_e32 vcc, 1, v18
	s_and_saveexec_b64 s[52:53], vcc
	s_cbranch_execz .LBB27_17
; %bb.23:                               ;   in Loop: Header=BB27_18 Depth=4
	v_ashrrev_i32_e32 v19, 31, v17
	v_mul_lo_u32 v20, s57, v17
	v_mad_u64_u32 v[17:18], s[54:55], s56, v17, 0
	v_mul_lo_u32 v19, s56, v19
	v_add3_u32 v18, v18, v19, v20
	v_lshlrev_b64 v[17:18], 1, v[17:18]
	v_add_co_u32_e32 v17, vcc, v14, v17
	v_addc_co_u32_e32 v18, vcc, v15, v18, vcc
	global_load_ushort v17, v[17:18], off
	s_nop 0
	global_load_ushort v18, v6, s[38:39]
	s_waitcnt vmcnt(1)
	v_cvt_f32_f16_e32 v17, v17
	s_waitcnt vmcnt(0)
	v_cvt_f32_f16_e32 v19, v18
	v_cvt_f64_f32_e32 v[17:18], v17
	v_cvt_f64_f32_e32 v[19:20], v19
	v_fma_f64 v[1:2], v[17:18], v[19:20], v[1:2]
	s_branch .LBB27_17
.LBB27_24:                              ;   in Loop: Header=BB27_18 Depth=4
	v_max_i32_e32 v18, v16, v21
	v_mul_hi_u32 v17, v18, v8
	v_ashrrev_i32_e32 v19, 31, v16
	v_mul_lo_u32 v20, v17, s44
	v_sub_u32_e32 v18, v18, v20
	v_subrev_u32_e32 v20, s44, v18
	v_cmp_le_u32_e32 vcc, s44, v18
	v_cndmask_b32_e32 v21, v18, v20, vcc
	v_subrev_u32_e32 v22, s44, v21
	v_cmp_le_u32_e32 vcc, s44, v21
	v_cndmask_b32_e32 v21, v21, v22, vcc
	v_xor_b32_e32 v21, v21, v19
	v_sub_u32_e32 v21, v21, v19
	v_cmp_ne_u32_e32 vcc, 0, v21
	s_and_b64 s[52:53], vcc, exec
                                        ; implicit-def: $vgpr21
	s_andn2_saveexec_b64 s[54:55], s[54:55]
	s_cbranch_execz .LBB27_20
.LBB27_25:                              ;   in Loop: Header=BB27_18 Depth=4
	v_max_i32_e32 v18, v16, v21
	v_mul_hi_u32 v17, v18, v8
	v_ashrrev_i32_e32 v19, 31, v16
	s_or_b64 s[52:53], s[52:53], exec
	v_mul_lo_u32 v20, v17, s44
	v_sub_u32_e32 v18, v18, v20
	v_subrev_u32_e32 v20, s44, v18
	s_or_b64 exec, exec, s[54:55]
	v_mov_b32_e32 v21, 1
	s_and_saveexec_b64 s[54:55], s[52:53]
	s_cbranch_execnz .LBB27_21
	s_branch .LBB27_22
.LBB27_26:                              ;   in Loop: Header=BB27_3 Depth=1
	v_mov_b32_e32 v1, 0
	v_mov_b32_e32 v2, 0
.LBB27_27:                              ;   in Loop: Header=BB27_3 Depth=1
	v_ashrrev_i32_e32 v12, 31, v3
	v_mul_lo_u32 v13, s11, v3
	v_mad_u64_u32 v[3:4], s[34:35], s10, v3, 0
	v_mul_lo_u32 v12, s10, v12
	s_and_b64 vcc, exec, s[14:15]
	v_add3_u32 v4, v4, v12, v13
	v_ashrrev_i32_e32 v12, 31, v11
	v_mad_u64_u32 v[3:4], s[34:35], s8, v11, v[3:4]
	v_mul_lo_u32 v11, s9, v11
	v_mul_lo_u32 v12, s8, v12
	s_mov_b64 s[34:35], -1
	v_add3_u32 v4, v11, v4, v12
	s_cbranch_vccz .LBB27_29
; %bb.28:                               ;   in Loop: Header=BB27_3 Depth=1
	v_lshlrev_b64 v[11:12], 1, v[3:4]
	v_mov_b32_e32 v13, s28
	v_add_co_u32_e32 v11, vcc, s26, v11
	v_addc_co_u32_e32 v12, vcc, v13, v12, vcc
	global_load_ushort v13, v[11:12], off
	s_mov_b64 s[34:35], 0
	s_waitcnt vmcnt(0)
	v_cvt_f32_f16_e32 v13, v13
	v_cvt_f64_f32_e32 v[13:14], v13
	v_mul_f64 v[13:14], s[42:43], v[13:14]
	v_fma_f64 v[13:14], s[40:41], v[1:2], v[13:14]
	v_and_or_b32 v13, v14, s65, v13
	v_cmp_ne_u32_e32 vcc, 0, v13
	v_lshrrev_b32_e32 v15, 8, v14
	v_bfe_u32 v16, v14, 20, 11
	v_cndmask_b32_e64 v13, 0, 1, vcc
	v_sub_u32_e32 v17, 0x3f1, v16
	v_and_or_b32 v13, v15, s66, v13
	v_med3_i32 v15, v17, 0, 13
	v_or_b32_e32 v17, 0x1000, v13
	v_lshrrev_b32_e32 v19, v15, v17
	v_add_u32_e32 v16, 0xfffffc10, v16
	v_cmp_ne_u32_e32 vcc, 0, v13
	v_lshlrev_b32_e32 v15, v15, v19
	v_lshl_or_b32 v18, v16, 12, v13
	v_cndmask_b32_e32 v13, v9, v10, vcc
	v_cmp_ne_u32_e32 vcc, v15, v17
	v_cndmask_b32_e64 v15, 0, 1, vcc
	v_or_b32_e32 v15, v19, v15
	v_cmp_gt_i32_e32 vcc, 1, v16
	v_cndmask_b32_e32 v15, v18, v15, vcc
	v_and_b32_e32 v17, 7, v15
	v_cmp_lt_i32_e32 vcc, 5, v17
	v_cndmask_b32_e64 v18, 0, 1, vcc
	v_cmp_eq_u32_e32 vcc, 3, v17
	v_cndmask_b32_e64 v17, 0, 1, vcc
	v_lshrrev_b32_e32 v15, 2, v15
	v_or_b32_e32 v17, v17, v18
	v_add_u32_e32 v15, v15, v17
	v_cmp_gt_i32_e32 vcc, 31, v16
	v_cndmask_b32_e32 v15, v9, v15, vcc
	v_cmp_eq_u32_e32 vcc, s67, v16
	v_lshrrev_b32_e32 v14, 16, v14
	v_cndmask_b32_e32 v13, v15, v13, vcc
	v_and_or_b32 v13, v14, s68, v13
	global_store_short v[11:12], v13, off
.LBB27_29:                              ;   in Loop: Header=BB27_3 Depth=1
	s_andn2_b64 vcc, exec, s[34:35]
	s_cbranch_vccnz .LBB27_2
; %bb.30:                               ;   in Loop: Header=BB27_3 Depth=1
	v_and_or_b32 v1, v2, s65, v1
	v_cmp_ne_u32_e32 vcc, 0, v1
	v_cndmask_b32_e64 v1, 0, 1, vcc
	v_lshrrev_b32_e32 v11, 8, v2
	v_bfe_u32 v12, v2, 20, 11
	v_and_or_b32 v1, v11, s66, v1
	v_sub_u32_e32 v13, 0x3f1, v12
	v_or_b32_e32 v11, 0x1000, v1
	v_med3_i32 v13, v13, 0, 13
	v_lshrrev_b32_e32 v14, v13, v11
	v_lshlrev_b32_e32 v13, v13, v14
	v_cmp_ne_u32_e32 vcc, v13, v11
	v_cndmask_b32_e64 v11, 0, 1, vcc
	v_add_u32_e32 v12, 0xfffffc10, v12
	v_or_b32_e32 v11, v14, v11
	v_lshl_or_b32 v13, v12, 12, v1
	v_cmp_gt_i32_e32 vcc, 1, v12
	v_cndmask_b32_e32 v11, v13, v11, vcc
	v_and_b32_e32 v13, 7, v11
	v_cmp_lt_i32_e32 vcc, 5, v13
	v_cndmask_b32_e64 v14, 0, 1, vcc
	v_cmp_eq_u32_e32 vcc, 3, v13
	v_cndmask_b32_e64 v13, 0, 1, vcc
	v_or_b32_e32 v13, v13, v14
	v_lshrrev_b32_e32 v11, 2, v11
	v_add_u32_e32 v11, v11, v13
	v_cmp_gt_i32_e32 vcc, 31, v12
	v_cndmask_b32_e32 v11, v9, v11, vcc
	v_cmp_ne_u32_e32 vcc, 0, v1
	v_cndmask_b32_e32 v1, v9, v10, vcc
	v_cmp_eq_u32_e32 vcc, s67, v12
	v_cndmask_b32_e32 v1, v11, v1, vcc
	v_lshrrev_b32_e32 v2, 16, v2
	v_and_or_b32 v11, v2, s68, v1
	v_lshlrev_b64 v[1:2], 1, v[3:4]
	v_mov_b32_e32 v3, s28
	v_add_co_u32_e32 v1, vcc, s26, v1
	v_addc_co_u32_e32 v2, vcc, v3, v2, vcc
	global_store_short v[1:2], v11, off
	s_branch .LBB27_2
.LBB27_31:
	s_endpgm
	.section	.rodata,"a",@progbits
	.p2align	6, 0x0
	.amdhsa_kernel naive_conv_ab_nonpacked_bwd_nchw_half_double_half
		.amdhsa_group_segment_fixed_size 0
		.amdhsa_private_segment_fixed_size 0
		.amdhsa_kernarg_size 480
		.amdhsa_user_sgpr_count 6
		.amdhsa_user_sgpr_private_segment_buffer 1
		.amdhsa_user_sgpr_dispatch_ptr 0
		.amdhsa_user_sgpr_queue_ptr 0
		.amdhsa_user_sgpr_kernarg_segment_ptr 1
		.amdhsa_user_sgpr_dispatch_id 0
		.amdhsa_user_sgpr_flat_scratch_init 0
		.amdhsa_user_sgpr_private_segment_size 0
		.amdhsa_uses_dynamic_stack 0
		.amdhsa_system_sgpr_private_segment_wavefront_offset 0
		.amdhsa_system_sgpr_workgroup_id_x 1
		.amdhsa_system_sgpr_workgroup_id_y 0
		.amdhsa_system_sgpr_workgroup_id_z 0
		.amdhsa_system_sgpr_workgroup_info 0
		.amdhsa_system_vgpr_workitem_id 0
		.amdhsa_next_free_vgpr 23
		.amdhsa_next_free_sgpr 74
		.amdhsa_reserve_vcc 1
		.amdhsa_reserve_flat_scratch 0
		.amdhsa_float_round_mode_32 0
		.amdhsa_float_round_mode_16_64 0
		.amdhsa_float_denorm_mode_32 3
		.amdhsa_float_denorm_mode_16_64 3
		.amdhsa_dx10_clamp 1
		.amdhsa_ieee_mode 1
		.amdhsa_fp16_overflow 0
		.amdhsa_exception_fp_ieee_invalid_op 0
		.amdhsa_exception_fp_denorm_src 0
		.amdhsa_exception_fp_ieee_div_zero 0
		.amdhsa_exception_fp_ieee_overflow 0
		.amdhsa_exception_fp_ieee_underflow 0
		.amdhsa_exception_fp_ieee_inexact 0
		.amdhsa_exception_int_div_zero 0
	.end_amdhsa_kernel
	.text
.Lfunc_end27:
	.size	naive_conv_ab_nonpacked_bwd_nchw_half_double_half, .Lfunc_end27-naive_conv_ab_nonpacked_bwd_nchw_half_double_half
                                        ; -- End function
	.set naive_conv_ab_nonpacked_bwd_nchw_half_double_half.num_vgpr, 23
	.set naive_conv_ab_nonpacked_bwd_nchw_half_double_half.num_agpr, 0
	.set naive_conv_ab_nonpacked_bwd_nchw_half_double_half.numbered_sgpr, 74
	.set naive_conv_ab_nonpacked_bwd_nchw_half_double_half.num_named_barrier, 0
	.set naive_conv_ab_nonpacked_bwd_nchw_half_double_half.private_seg_size, 0
	.set naive_conv_ab_nonpacked_bwd_nchw_half_double_half.uses_vcc, 1
	.set naive_conv_ab_nonpacked_bwd_nchw_half_double_half.uses_flat_scratch, 0
	.set naive_conv_ab_nonpacked_bwd_nchw_half_double_half.has_dyn_sized_stack, 0
	.set naive_conv_ab_nonpacked_bwd_nchw_half_double_half.has_recursion, 0
	.set naive_conv_ab_nonpacked_bwd_nchw_half_double_half.has_indirect_call, 0
	.section	.AMDGPU.csdata,"",@progbits
; Kernel info:
; codeLenInByte = 2504
; TotalNumSgprs: 78
; NumVgprs: 23
; ScratchSize: 0
; MemoryBound: 0
; FloatMode: 240
; IeeeMode: 1
; LDSByteSize: 0 bytes/workgroup (compile time only)
; SGPRBlocks: 9
; VGPRBlocks: 5
; NumSGPRsForWavesPerEU: 78
; NumVGPRsForWavesPerEU: 23
; Occupancy: 10
; WaveLimiterHint : 0
; COMPUTE_PGM_RSRC2:SCRATCH_EN: 0
; COMPUTE_PGM_RSRC2:USER_SGPR: 6
; COMPUTE_PGM_RSRC2:TRAP_HANDLER: 0
; COMPUTE_PGM_RSRC2:TGID_X_EN: 1
; COMPUTE_PGM_RSRC2:TGID_Y_EN: 0
; COMPUTE_PGM_RSRC2:TGID_Z_EN: 0
; COMPUTE_PGM_RSRC2:TIDIG_COMP_CNT: 0
	.text
	.protected	naive_conv_ab_packed_bwd_nchw_ushort_double_ushort ; -- Begin function naive_conv_ab_packed_bwd_nchw_ushort_double_ushort
	.globl	naive_conv_ab_packed_bwd_nchw_ushort_double_ushort
	.p2align	8
	.type	naive_conv_ab_packed_bwd_nchw_ushort_double_ushort,@function
naive_conv_ab_packed_bwd_nchw_ushort_double_ushort: ; @naive_conv_ab_packed_bwd_nchw_ushort_double_ushort
; %bb.0:
	s_load_dwordx16 s[8:23], s[4:5], 0xa0
	s_abs_i32 s2, s6
	s_waitcnt lgkmcnt(0)
	s_abs_i32 s0, s12
	v_cvt_f32_u32_e32 v1, s0
	s_sub_i32 s1, 0, s0
	s_mul_i32 s33, s12, s10
	v_rcp_iflag_f32_e32 v1, v1
	v_mul_f32_e32 v1, 0x4f7ffffe, v1
	v_cvt_u32_f32_e32 v1, v1
	v_readfirstlane_b32 s3, v1
	s_mul_i32 s1, s1, s3
	s_mul_hi_u32 s1, s3, s1
	s_add_i32 s3, s3, s1
	s_mul_hi_u32 s1, s2, s3
	s_mul_i32 s3, s1, s0
	s_sub_i32 s3, s2, s3
	s_add_i32 s7, s1, 1
	s_sub_i32 s24, s3, s0
	s_cmp_ge_u32 s3, s0
	s_cselect_b32 s1, s7, s1
	s_cselect_b32 s3, s24, s3
	s_add_i32 s7, s1, 1
	s_cmp_ge_u32 s3, s0
	s_cselect_b32 s35, s7, s1
	s_abs_i32 s7, s10
	s_abs_i32 s3, s33
	v_cvt_f32_u32_e32 v1, s7
	v_cvt_f32_u32_e32 v2, s3
	s_mul_i32 s10, s9, s8
	v_cmp_gt_i32_e32 vcc, s10, v0
	v_rcp_iflag_f32_e32 v1, v1
	v_rcp_iflag_f32_e32 v2, v2
	v_mul_f32_e32 v1, 0x4f7ffffe, v1
	v_mul_f32_e32 v2, 0x4f7ffffe, v2
	v_cvt_u32_f32_e32 v1, v1
	v_cvt_u32_f32_e32 v2, v2
	v_readfirstlane_b32 s37, v1
	v_readfirstlane_b32 s36, v2
	s_and_saveexec_b64 s[0:1], vcc
	s_cbranch_execz .LBB28_31
; %bb.1:
	s_ashr_i32 s38, s6, 31
	s_ashr_i32 s34, s12, 31
	s_xor_b32 s39, s38, s34
	s_sub_i32 s41, 0, s7
	s_xor_b32 s35, s35, s39
	s_mul_i32 s41, s41, s37
	s_sub_i32 s35, s35, s39
	s_mul_hi_u32 s41, s37, s41
	s_abs_i32 s40, s35
	s_add_i32 s37, s37, s41
	s_mul_hi_u32 s37, s40, s37
	s_sub_i32 s41, 0, s3
	s_ashr_i32 s39, s35, 31
	s_mul_i32 s41, s41, s36
	s_mul_i32 s35, s35, s12
	;; [unrolled: 1-line block ×3, first 2 shown]
	s_mul_hi_u32 s41, s36, s41
	s_sub_i32 s35, s6, s35
	s_sub_i32 s6, s40, s37
	s_ashr_i32 s33, s33, 31
	s_add_i32 s36, s36, s41
	s_sub_i32 s37, s6, s7
	s_cmp_ge_u32 s6, s7
	s_cselect_b32 s6, s37, s6
	s_sub_i32 s37, s6, s7
	s_mul_hi_u32 s36, s2, s36
	s_cmp_ge_u32 s6, s7
	s_cselect_b32 s6, s37, s6
	s_xor_b32 s7, s38, s33
	s_mul_i32 s33, s36, s3
	s_xor_b32 s6, s6, s39
	s_sub_i32 s2, s2, s33
	s_sub_i32 s6, s6, s39
	s_add_i32 s33, s36, 1
	s_sub_i32 s37, s2, s3
	s_cmp_ge_u32 s2, s3
	s_cselect_b32 s33, s33, s36
	s_cselect_b32 s2, s37, s2
	s_add_i32 s36, s33, 1
	s_cmp_ge_u32 s2, s3
	s_cselect_b32 s2, s36, s33
	s_mul_i32 s41, s23, s11
	s_mul_i32 s23, s23, s12
	s_xor_b32 s2, s2, s7
	s_sub_i32 s7, s2, s7
	s_mul_i32 s3, s6, s23
	s_ashr_i32 s33, s9, 31
	s_ashr_i32 s38, s35, 31
	s_mul_hi_i32 s2, s6, s23
	s_add_u32 s3, s3, s35
	s_mul_i32 s36, s7, s12
	s_addc_u32 s2, s2, s38
	s_mul_hi_i32 s23, s7, s12
	s_add_u32 s36, s3, s36
	s_addc_u32 s2, s2, s23
	s_load_dwordx8 s[24:31], s[4:5], 0x0
	s_load_dwordx2 s[0:1], s[4:5], 0x20
	s_mul_hi_i32 s3, s9, s8
	s_mul_i32 s2, s10, s2
	s_mul_hi_u32 s8, s10, s36
	s_add_i32 s2, s8, s2
	s_mul_i32 s3, s3, s36
	s_add_i32 s3, s2, s3
	s_mul_i32 s2, s10, s36
	s_lshl_b64 s[2:3], s[2:3], 1
	s_waitcnt lgkmcnt(0)
	s_add_u32 s43, s24, s2
	s_mul_hi_i32 s2, s7, s11
	s_mul_i32 s7, s7, s11
	s_addc_u32 s44, s25, s3
	s_mul_i32 s3, s7, s34
	s_mul_hi_u32 s8, s7, s12
	s_add_i32 s3, s8, s3
	s_mul_i32 s8, s2, s12
	s_add_i32 s39, s3, s8
	s_ashr_i32 s23, s22, 31
	s_mul_hi_i32 s3, s6, s41
	s_mul_i32 s6, s6, s41
	s_ashr_i32 s45, s13, 31
	s_ashr_i32 s46, s14, 31
	s_add_u32 s6, s7, s6
	s_addc_u32 s2, s2, s3
	s_mul_i32 s8, s14, s13
	s_mul_hi_i32 s3, s14, s13
	s_mul_i32 s2, s8, s2
	s_mul_hi_u32 s24, s8, s6
	s_add_i32 s2, s24, s2
	s_mul_i32 s3, s3, s6
	s_add_i32 s3, s2, s3
	s_mul_i32 s2, s8, s6
	s_lshl_b64 s[2:3], s[2:3], 1
	s_add_u32 s47, s0, s2
	s_addc_u32 s48, s1, s3
	s_cmp_gt_i32 s11, 0
	s_cselect_b64 s[0:1], -1, 0
	s_cmp_gt_i32 s21, 0
	s_cselect_b64 s[2:3], -1, 0
	s_cmp_gt_i32 s22, 0
	s_load_dword s40, s[4:5], 0xec
	s_cselect_b64 s[4:5], -1, 0
	s_abs_i32 s49, s9
	v_cvt_f32_u32_e32 v1, s49
	s_abs_i32 s53, s15
	v_cvt_f32_u32_e32 v2, s53
	;; [unrolled: 2-line block ×3, first 2 shown]
	v_rcp_iflag_f32_e32 v1, v1
	v_rcp_iflag_f32_e32 v2, v2
	v_cmp_neq_f64_e64 s[24:25], s[28:29], 1.0
	v_cmp_neq_f64_e64 s[36:37], s[30:31], 0
	v_rcp_iflag_f32_e32 v3, v3
	v_mul_f32_e32 v1, 0x4f7ffffe, v1
	v_cvt_u32_f32_e32 v1, v1
	v_mul_f32_e32 v2, 0x4f7ffffe, v2
	v_cvt_u32_f32_e32 v2, v2
	v_mul_f32_e32 v3, 0x4f7ffffe, v3
	s_mov_b32 s51, s13
	s_sub_i32 s13, 0, s49
	v_cvt_u32_f32_e32 v3, v3
	v_mul_lo_u32 v4, s13, v1
	s_sub_i32 s13, 0, s53
	s_mov_b32 s42, s9
	s_mul_i32 s41, s7, s12
	s_or_b64 s[8:9], s[24:25], s[36:37]
	s_waitcnt lgkmcnt(0)
	s_and_b32 s55, s40, 0xffff
	v_mul_lo_u32 v5, s13, v2
	s_sub_i32 s13, 0, s54
	s_ashr_i32 s56, s15, 31
	s_ashr_i32 s16, s16, 31
	v_mul_lo_u32 v8, s13, v3
	s_add_u32 s13, s41, s35
	s_mov_b32 s52, s14
	v_mul_hi_u32 v4, v1, v4
	s_addc_u32 s14, s39, s38
	s_mul_i32 s24, s22, s21
	s_mov_b32 s50, s21
	s_mul_i32 s14, s24, s14
	s_mul_hi_u32 s15, s24, s13
	s_mul_hi_i32 s21, s22, s21
	s_add_i32 s14, s15, s14
	s_mul_i32 s15, s21, s13
	s_add_i32 s15, s14, s15
	s_mul_i32 s14, s24, s13
	v_add_u32_e32 v6, v1, v4
	v_mul_hi_u32 v1, v2, v5
	v_mul_hi_u32 v4, v3, v8
	s_lshl_b64 s[14:15], s[14:15], 1
	s_add_u32 s14, s26, s14
	s_mul_i32 s13, s24, s34
	s_mul_hi_u32 s25, s24, s12
	s_addc_u32 s15, s27, s15
	s_add_i32 s13, s25, s13
	s_mul_i32 s21, s21, s12
	s_add_i32 s13, s13, s21
	s_mul_i32 s12, s24, s12
	s_mov_b64 s[6:7], 0
	v_mov_b32_e32 v7, 0
	v_add_u32_e32 v8, v2, v1
	v_add_u32_e32 v9, v3, v4
	s_lshl_b64 s[12:13], s[12:13], 1
	s_lshl_b64 s[24:25], s[22:23], 1
	s_mov_b32 s21, 0x7f800000
	s_branch .LBB28_3
.LBB28_2:                               ;   in Loop: Header=BB28_3 Depth=1
	v_add_u32_e32 v0, s55, v0
	v_cmp_le_i32_e32 vcc, s10, v0
	s_or_b64 s[6:7], vcc, s[6:7]
	s_andn2_b64 exec, exec, s[6:7]
	s_cbranch_execz .LBB28_31
.LBB28_3:                               ; =>This Loop Header: Depth=1
                                        ;     Child Loop BB28_6 Depth 2
                                        ;       Child Loop BB28_9 Depth 3
                                        ;         Child Loop BB28_18 Depth 4
	v_sub_u32_e32 v1, 0, v0
	v_max_i32_e32 v1, v0, v1
	v_mul_hi_u32 v2, v1, v6
	v_ashrrev_i32_e32 v4, 31, v0
	v_xor_b32_e32 v4, s33, v4
	v_mul_lo_u32 v3, v2, s49
	v_add_u32_e32 v5, 1, v2
	v_sub_u32_e32 v1, v1, v3
	v_cmp_le_u32_e32 vcc, s49, v1
	v_subrev_u32_e32 v3, s49, v1
	v_cndmask_b32_e32 v2, v2, v5, vcc
	v_cndmask_b32_e32 v1, v1, v3, vcc
	v_add_u32_e32 v3, 1, v2
	v_cmp_le_u32_e32 vcc, s49, v1
	v_cndmask_b32_e32 v1, v2, v3, vcc
	v_xor_b32_e32 v1, v1, v4
	v_sub_u32_e32 v10, v1, v4
	v_mul_lo_u32 v1, v10, s42
	s_andn2_b64 vcc, exec, s[0:1]
	v_sub_u32_e32 v3, v0, v1
	s_cbranch_vccnz .LBB28_26
; %bb.4:                                ;   in Loop: Header=BB28_3 Depth=1
	v_mov_b32_e32 v1, 0
	v_add_u32_e32 v11, s19, v10
	v_add_u32_e32 v12, s20, v3
	v_mov_b32_e32 v2, 0
	s_mov_b32 s23, 0
	s_mov_b64 s[26:27], s[14:15]
	s_branch .LBB28_6
.LBB28_5:                               ;   in Loop: Header=BB28_6 Depth=2
	s_add_i32 s23, s23, 1
	s_add_u32 s26, s26, s12
	s_addc_u32 s27, s27, s13
	s_cmp_eq_u32 s23, s11
	s_cbranch_scc1 .LBB28_27
.LBB28_6:                               ;   Parent Loop BB28_3 Depth=1
                                        ; =>  This Loop Header: Depth=2
                                        ;       Child Loop BB28_9 Depth 3
                                        ;         Child Loop BB28_18 Depth 4
	s_andn2_b64 vcc, exec, s[2:3]
	s_cbranch_vccnz .LBB28_5
; %bb.7:                                ;   in Loop: Header=BB28_6 Depth=2
	s_mul_i32 s34, s23, s45
	s_mul_hi_u32 s35, s23, s51
	s_add_i32 s57, s35, s34
	s_mul_i32 s58, s23, s51
	s_mov_b32 s59, 0
	s_mov_b64 s[34:35], s[26:27]
	s_branch .LBB28_9
.LBB28_8:                               ;   in Loop: Header=BB28_9 Depth=3
	s_add_i32 s59, s59, 1
	s_add_u32 s34, s34, s24
	s_addc_u32 s35, s35, s25
	s_cmp_eq_u32 s59, s50
	s_cbranch_scc1 .LBB28_5
.LBB28_9:                               ;   Parent Loop BB28_3 Depth=1
                                        ;     Parent Loop BB28_6 Depth=2
                                        ; =>    This Loop Header: Depth=3
                                        ;         Child Loop BB28_18 Depth 4
	s_mul_i32 s36, s17, s59
	v_subrev_u32_e32 v15, s36, v11
	v_cmp_lt_i32_e32 vcc, -1, v15
	s_mov_b64 s[36:37], 0
                                        ; implicit-def: $vgpr13
                                        ; implicit-def: $vgpr4
                                        ; implicit-def: $vgpr5
                                        ; implicit-def: $vgpr14
	s_and_saveexec_b64 s[38:39], vcc
	s_xor_b64 s[38:39], exec, s[38:39]
	s_cbranch_execnz .LBB28_13
; %bb.10:                               ;   in Loop: Header=BB28_9 Depth=3
	s_andn2_saveexec_b64 s[38:39], s[38:39]
	s_cbranch_execnz .LBB28_14
.LBB28_11:                              ;   in Loop: Header=BB28_9 Depth=3
	s_or_b64 exec, exec, s[38:39]
	v_mov_b32_e32 v15, 1
	s_and_saveexec_b64 s[38:39], s[36:37]
	s_cbranch_execnz .LBB28_15
.LBB28_12:                              ;   in Loop: Header=BB28_9 Depth=3
	s_or_b64 exec, exec, s[38:39]
	s_andn2_b64 vcc, exec, s[4:5]
	s_cbranch_vccz .LBB28_16
	s_branch .LBB28_8
.LBB28_13:                              ;   in Loop: Header=BB28_9 Depth=3
	v_sub_u32_e32 v4, 0, v15
	v_max_i32_e32 v5, v15, v4
	v_mul_hi_u32 v4, v5, v8
	v_ashrrev_i32_e32 v13, 31, v15
	v_mul_lo_u32 v14, v4, s53
	v_sub_u32_e32 v5, v5, v14
	v_subrev_u32_e32 v14, s53, v5
	v_cmp_le_u32_e32 vcc, s53, v5
	v_cndmask_b32_e32 v15, v5, v14, vcc
	v_subrev_u32_e32 v16, s53, v15
	v_cmp_le_u32_e32 vcc, s53, v15
	v_cndmask_b32_e32 v15, v15, v16, vcc
	v_xor_b32_e32 v15, v15, v13
	v_sub_u32_e32 v15, v15, v13
	v_cmp_ne_u32_e32 vcc, 0, v15
	s_and_b64 s[36:37], vcc, exec
                                        ; implicit-def: $vgpr15
	s_andn2_saveexec_b64 s[38:39], s[38:39]
	s_cbranch_execz .LBB28_11
.LBB28_14:                              ;   in Loop: Header=BB28_9 Depth=3
	v_sub_u32_e32 v4, 0, v15
	v_max_i32_e32 v5, v15, v4
	v_mul_hi_u32 v4, v5, v8
	v_ashrrev_i32_e32 v13, 31, v15
	s_or_b64 s[36:37], s[36:37], exec
	v_mul_lo_u32 v14, v4, s53
	v_sub_u32_e32 v5, v5, v14
	v_subrev_u32_e32 v14, s53, v5
	s_or_b64 exec, exec, s[38:39]
	v_mov_b32_e32 v15, 1
	s_and_saveexec_b64 s[38:39], s[36:37]
	s_cbranch_execz .LBB28_12
.LBB28_15:                              ;   in Loop: Header=BB28_9 Depth=3
	v_mov_b32_e32 v15, 0
	s_or_b64 exec, exec, s[38:39]
	s_andn2_b64 vcc, exec, s[4:5]
	s_cbranch_vccnz .LBB28_8
.LBB28_16:                              ;   in Loop: Header=BB28_9 Depth=3
	v_add_u32_e32 v16, 1, v4
	v_cmp_le_u32_e32 vcc, s53, v5
	v_cndmask_b32_e32 v4, v4, v16, vcc
	v_cndmask_b32_e32 v5, v5, v14, vcc
	v_add_u32_e32 v14, 1, v4
	v_cmp_le_u32_e32 vcc, s53, v5
	v_xor_b32_e32 v13, s56, v13
	v_cndmask_b32_e32 v4, v4, v14, vcc
	v_xor_b32_e32 v4, v4, v13
	v_sub_u32_e32 v13, v4, v13
	v_ashrrev_i32_e32 v4, 31, v13
	v_mov_b32_e32 v5, s57
	v_add_co_u32_e32 v14, vcc, s58, v13
	v_addc_co_u32_e32 v4, vcc, v5, v4, vcc
	v_mul_lo_u32 v16, v4, s52
	v_mul_lo_u32 v17, v14, s46
	v_mad_u64_u32 v[4:5], s[36:37], v14, s52, 0
	v_cmp_gt_i32_e32 vcc, s51, v13
	v_cndmask_b32_e32 v13, 0, v15, vcc
	v_add3_u32 v5, v5, v17, v16
	v_lshlrev_b64 v[4:5], 1, v[4:5]
	v_mov_b32_e32 v15, s48
	v_add_co_u32_e32 v14, vcc, s47, v4
	v_addc_co_u32_e32 v15, vcc, v15, v5, vcc
	s_mov_b64 s[36:37], s[34:35]
	s_mov_b32 s60, s22
	v_mov_b32_e32 v16, v12
	s_branch .LBB28_18
.LBB28_17:                              ;   in Loop: Header=BB28_18 Depth=4
	s_or_b64 exec, exec, s[38:39]
	s_add_i32 s60, s60, -1
	s_add_u32 s36, s36, 2
	s_addc_u32 s37, s37, 0
	s_cmp_eq_u32 s60, 0
	v_subrev_u32_e32 v16, s18, v16
	s_cbranch_scc1 .LBB28_8
.LBB28_18:                              ;   Parent Loop BB28_3 Depth=1
                                        ;     Parent Loop BB28_6 Depth=2
                                        ;       Parent Loop BB28_9 Depth=3
                                        ; =>      This Inner Loop Header: Depth=4
	v_cmp_lt_i32_e32 vcc, -1, v16
	s_mov_b64 s[38:39], 0
	v_sub_u32_e32 v19, 0, v16
                                        ; implicit-def: $vgpr17
                                        ; implicit-def: $vgpr4
                                        ; implicit-def: $vgpr5
                                        ; implicit-def: $vgpr18
	s_and_saveexec_b64 s[40:41], vcc
	s_xor_b64 s[40:41], exec, s[40:41]
	s_cbranch_execnz .LBB28_24
; %bb.19:                               ;   in Loop: Header=BB28_18 Depth=4
	s_andn2_saveexec_b64 s[40:41], s[40:41]
	s_cbranch_execnz .LBB28_25
.LBB28_20:                              ;   in Loop: Header=BB28_18 Depth=4
	s_or_b64 exec, exec, s[40:41]
	v_mov_b32_e32 v19, 1
	s_and_saveexec_b64 s[40:41], s[38:39]
.LBB28_21:                              ;   in Loop: Header=BB28_18 Depth=4
	v_mov_b32_e32 v19, 0
.LBB28_22:                              ;   in Loop: Header=BB28_18 Depth=4
	s_or_b64 exec, exec, s[40:41]
	v_add_u32_e32 v20, 1, v4
	v_cmp_le_u32_e32 vcc, s54, v5
	v_cndmask_b32_e32 v4, v4, v20, vcc
	v_cndmask_b32_e32 v5, v5, v18, vcc
	v_add_u32_e32 v18, 1, v4
	v_cmp_le_u32_e32 vcc, s54, v5
	v_xor_b32_e32 v17, s16, v17
	v_cndmask_b32_e32 v4, v4, v18, vcc
	v_xor_b32_e32 v4, v4, v17
	v_sub_u32_e32 v4, v4, v17
	v_cmp_gt_i32_e32 vcc, s52, v4
	v_cndmask_b32_e32 v5, 0, v19, vcc
	v_and_b32_e32 v5, v5, v13
	v_and_b32_e32 v5, 1, v5
	v_cmp_eq_u32_e32 vcc, 1, v5
	s_and_saveexec_b64 s[38:39], vcc
	s_cbranch_execz .LBB28_17
; %bb.23:                               ;   in Loop: Header=BB28_18 Depth=4
	v_ashrrev_i32_e32 v5, 31, v4
	v_lshlrev_b64 v[4:5], 1, v[4:5]
	v_add_co_u32_e32 v4, vcc, v14, v4
	v_addc_co_u32_e32 v5, vcc, v15, v5, vcc
	global_load_ushort v17, v7, s[36:37]
	s_nop 0
	global_load_ushort v4, v[4:5], off
	s_waitcnt vmcnt(1)
	v_lshlrev_b32_e32 v5, 16, v17
	s_waitcnt vmcnt(0)
	v_lshlrev_b32_e32 v17, 16, v4
	v_cvt_f64_f32_e32 v[4:5], v5
	v_cvt_f64_f32_e32 v[17:18], v17
	v_fma_f64 v[1:2], v[17:18], v[4:5], v[1:2]
	s_branch .LBB28_17
.LBB28_24:                              ;   in Loop: Header=BB28_18 Depth=4
	v_max_i32_e32 v5, v16, v19
	v_mul_hi_u32 v4, v5, v9
	v_ashrrev_i32_e32 v17, 31, v16
	v_mul_lo_u32 v18, v4, s54
	v_sub_u32_e32 v5, v5, v18
	v_subrev_u32_e32 v18, s54, v5
	v_cmp_le_u32_e32 vcc, s54, v5
	v_cndmask_b32_e32 v19, v5, v18, vcc
	v_subrev_u32_e32 v20, s54, v19
	v_cmp_le_u32_e32 vcc, s54, v19
	v_cndmask_b32_e32 v19, v19, v20, vcc
	v_xor_b32_e32 v19, v19, v17
	v_sub_u32_e32 v19, v19, v17
	v_cmp_ne_u32_e32 vcc, 0, v19
	s_and_b64 s[38:39], vcc, exec
                                        ; implicit-def: $vgpr19
	s_andn2_saveexec_b64 s[40:41], s[40:41]
	s_cbranch_execz .LBB28_20
.LBB28_25:                              ;   in Loop: Header=BB28_18 Depth=4
	v_max_i32_e32 v5, v16, v19
	v_mul_hi_u32 v4, v5, v9
	v_ashrrev_i32_e32 v17, 31, v16
	s_or_b64 s[38:39], s[38:39], exec
	v_mul_lo_u32 v18, v4, s54
	v_sub_u32_e32 v5, v5, v18
	v_subrev_u32_e32 v18, s54, v5
	s_or_b64 exec, exec, s[40:41]
	v_mov_b32_e32 v19, 1
	s_and_saveexec_b64 s[40:41], s[38:39]
	s_cbranch_execnz .LBB28_21
	s_branch .LBB28_22
.LBB28_26:                              ;   in Loop: Header=BB28_3 Depth=1
	v_mov_b32_e32 v1, 0
	v_mov_b32_e32 v2, 0
.LBB28_27:                              ;   in Loop: Header=BB28_3 Depth=1
	v_ashrrev_i32_e32 v4, 31, v3
	v_mad_i64_i32 v[3:4], s[26:27], v10, s42, v[3:4]
	s_mov_b64 s[26:27], -1
	s_and_b64 vcc, exec, s[8:9]
	s_cbranch_vccz .LBB28_29
; %bb.28:                               ;   in Loop: Header=BB28_3 Depth=1
	v_lshlrev_b64 v[10:11], 1, v[3:4]
	v_mov_b32_e32 v5, s44
	v_add_co_u32_e32 v10, vcc, s43, v10
	v_addc_co_u32_e32 v11, vcc, v5, v11, vcc
	global_load_ushort v5, v[10:11], off
	s_waitcnt vmcnt(0)
	v_lshlrev_b32_e32 v5, 16, v5
	v_cvt_f64_f32_e32 v[12:13], v5
	v_mul_f64 v[12:13], s[30:31], v[12:13]
	v_fma_f64 v[12:13], s[28:29], v[1:2], v[12:13]
	v_cvt_f32_f64_e32 v5, v[12:13]
	v_and_b32_e32 v12, 0x7f800000, v5
	v_cmp_ne_u32_sdwa s[26:27], v5, v7 src0_sel:WORD_0 src1_sel:DWORD
	v_cmp_eq_u32_e32 vcc, s21, v12
	s_and_b64 s[26:27], vcc, s[26:27]
	v_cndmask_b32_e64 v12, 0, 1, s[26:27]
	v_or_b32_sdwa v5, v5, v12 dst_sel:DWORD dst_unused:UNUSED_PAD src0_sel:WORD_1 src1_sel:DWORD
	global_store_short v[10:11], v5, off
	s_mov_b64 s[26:27], 0
.LBB28_29:                              ;   in Loop: Header=BB28_3 Depth=1
	s_andn2_b64 vcc, exec, s[26:27]
	s_cbranch_vccnz .LBB28_2
; %bb.30:                               ;   in Loop: Header=BB28_3 Depth=1
	v_cvt_f32_f64_e32 v5, v[1:2]
	v_lshlrev_b64 v[1:2], 1, v[3:4]
	v_mov_b32_e32 v4, s44
	v_and_b32_e32 v3, 0x7f800000, v5
	v_cmp_ne_u32_sdwa s[26:27], v5, v7 src0_sel:WORD_0 src1_sel:DWORD
	v_cmp_eq_u32_e32 vcc, s21, v3
	s_and_b64 s[26:27], vcc, s[26:27]
	v_cndmask_b32_e64 v3, 0, 1, s[26:27]
	v_add_co_u32_e32 v1, vcc, s43, v1
	v_or_b32_sdwa v3, v5, v3 dst_sel:DWORD dst_unused:UNUSED_PAD src0_sel:WORD_1 src1_sel:DWORD
	v_addc_co_u32_e32 v2, vcc, v4, v2, vcc
	global_store_short v[1:2], v3, off
	s_branch .LBB28_2
.LBB28_31:
	s_endpgm
	.section	.rodata,"a",@progbits
	.p2align	6, 0x0
	.amdhsa_kernel naive_conv_ab_packed_bwd_nchw_ushort_double_ushort
		.amdhsa_group_segment_fixed_size 0
		.amdhsa_private_segment_fixed_size 0
		.amdhsa_kernarg_size 480
		.amdhsa_user_sgpr_count 6
		.amdhsa_user_sgpr_private_segment_buffer 1
		.amdhsa_user_sgpr_dispatch_ptr 0
		.amdhsa_user_sgpr_queue_ptr 0
		.amdhsa_user_sgpr_kernarg_segment_ptr 1
		.amdhsa_user_sgpr_dispatch_id 0
		.amdhsa_user_sgpr_flat_scratch_init 0
		.amdhsa_user_sgpr_private_segment_size 0
		.amdhsa_uses_dynamic_stack 0
		.amdhsa_system_sgpr_private_segment_wavefront_offset 0
		.amdhsa_system_sgpr_workgroup_id_x 1
		.amdhsa_system_sgpr_workgroup_id_y 0
		.amdhsa_system_sgpr_workgroup_id_z 0
		.amdhsa_system_sgpr_workgroup_info 0
		.amdhsa_system_vgpr_workitem_id 0
		.amdhsa_next_free_vgpr 21
		.amdhsa_next_free_sgpr 61
		.amdhsa_reserve_vcc 1
		.amdhsa_reserve_flat_scratch 0
		.amdhsa_float_round_mode_32 0
		.amdhsa_float_round_mode_16_64 0
		.amdhsa_float_denorm_mode_32 3
		.amdhsa_float_denorm_mode_16_64 3
		.amdhsa_dx10_clamp 1
		.amdhsa_ieee_mode 1
		.amdhsa_fp16_overflow 0
		.amdhsa_exception_fp_ieee_invalid_op 0
		.amdhsa_exception_fp_denorm_src 0
		.amdhsa_exception_fp_ieee_div_zero 0
		.amdhsa_exception_fp_ieee_overflow 0
		.amdhsa_exception_fp_ieee_underflow 0
		.amdhsa_exception_fp_ieee_inexact 0
		.amdhsa_exception_int_div_zero 0
	.end_amdhsa_kernel
	.text
.Lfunc_end28:
	.size	naive_conv_ab_packed_bwd_nchw_ushort_double_ushort, .Lfunc_end28-naive_conv_ab_packed_bwd_nchw_ushort_double_ushort
                                        ; -- End function
	.set naive_conv_ab_packed_bwd_nchw_ushort_double_ushort.num_vgpr, 21
	.set naive_conv_ab_packed_bwd_nchw_ushort_double_ushort.num_agpr, 0
	.set naive_conv_ab_packed_bwd_nchw_ushort_double_ushort.numbered_sgpr, 61
	.set naive_conv_ab_packed_bwd_nchw_ushort_double_ushort.num_named_barrier, 0
	.set naive_conv_ab_packed_bwd_nchw_ushort_double_ushort.private_seg_size, 0
	.set naive_conv_ab_packed_bwd_nchw_ushort_double_ushort.uses_vcc, 1
	.set naive_conv_ab_packed_bwd_nchw_ushort_double_ushort.uses_flat_scratch, 0
	.set naive_conv_ab_packed_bwd_nchw_ushort_double_ushort.has_dyn_sized_stack, 0
	.set naive_conv_ab_packed_bwd_nchw_ushort_double_ushort.has_recursion, 0
	.set naive_conv_ab_packed_bwd_nchw_ushort_double_ushort.has_indirect_call, 0
	.section	.AMDGPU.csdata,"",@progbits
; Kernel info:
; codeLenInByte = 2060
; TotalNumSgprs: 65
; NumVgprs: 21
; ScratchSize: 0
; MemoryBound: 0
; FloatMode: 240
; IeeeMode: 1
; LDSByteSize: 0 bytes/workgroup (compile time only)
; SGPRBlocks: 8
; VGPRBlocks: 5
; NumSGPRsForWavesPerEU: 65
; NumVGPRsForWavesPerEU: 21
; Occupancy: 10
; WaveLimiterHint : 0
; COMPUTE_PGM_RSRC2:SCRATCH_EN: 0
; COMPUTE_PGM_RSRC2:USER_SGPR: 6
; COMPUTE_PGM_RSRC2:TRAP_HANDLER: 0
; COMPUTE_PGM_RSRC2:TGID_X_EN: 1
; COMPUTE_PGM_RSRC2:TGID_Y_EN: 0
; COMPUTE_PGM_RSRC2:TGID_Z_EN: 0
; COMPUTE_PGM_RSRC2:TIDIG_COMP_CNT: 0
	.text
	.protected	naive_conv_ab_nonpacked_bwd_nchw_ushort_double_ushort ; -- Begin function naive_conv_ab_nonpacked_bwd_nchw_ushort_double_ushort
	.globl	naive_conv_ab_nonpacked_bwd_nchw_ushort_double_ushort
	.p2align	8
	.type	naive_conv_ab_nonpacked_bwd_nchw_ushort_double_ushort,@function
naive_conv_ab_nonpacked_bwd_nchw_ushort_double_ushort: ; @naive_conv_ab_nonpacked_bwd_nchw_ushort_double_ushort
; %bb.0:
	s_load_dwordx8 s[24:31], s[4:5], 0xa0
	s_abs_i32 s0, s6
	s_waitcnt lgkmcnt(0)
	s_abs_i32 s1, s28
	v_cvt_f32_u32_e32 v1, s1
	s_sub_i32 s2, 0, s1
	s_mul_i32 s3, s28, s26
	s_mul_i32 s24, s25, s24
	v_rcp_iflag_f32_e32 v1, v1
	v_cmp_gt_i32_e32 vcc, s24, v0
	v_mul_f32_e32 v1, 0x4f7ffffe, v1
	v_cvt_u32_f32_e32 v1, v1
	v_readfirstlane_b32 s7, v1
	s_mul_i32 s2, s2, s7
	s_mul_hi_u32 s2, s7, s2
	s_add_i32 s7, s7, s2
	s_mul_hi_u32 s2, s0, s7
	s_mul_i32 s7, s2, s1
	s_sub_i32 s7, s0, s7
	s_add_i32 s8, s2, 1
	s_sub_i32 s9, s7, s1
	s_cmp_ge_u32 s7, s1
	s_cselect_b32 s2, s8, s2
	s_cselect_b32 s7, s9, s7
	s_add_i32 s8, s2, 1
	s_cmp_ge_u32 s7, s1
	s_cselect_b32 s7, s8, s2
	s_abs_i32 s2, s26
	s_abs_i32 s1, s3
	v_cvt_f32_u32_e32 v1, s2
	v_cvt_f32_u32_e32 v2, s1
	v_rcp_iflag_f32_e32 v1, v1
	v_rcp_iflag_f32_e32 v2, v2
	v_mul_f32_e32 v1, 0x4f7ffffe, v1
	v_mul_f32_e32 v2, 0x4f7ffffe, v2
	v_cvt_u32_f32_e32 v1, v1
	v_cvt_u32_f32_e32 v2, v2
	v_readfirstlane_b32 s9, v1
	v_readfirstlane_b32 s8, v2
	s_and_saveexec_b64 s[10:11], vcc
	s_cbranch_execz .LBB29_31
; %bb.1:
	s_ashr_i32 s26, s6, 31
	s_ashr_i32 s10, s28, 31
	s_xor_b32 s10, s26, s10
	s_xor_b32 s7, s7, s10
	s_sub_i32 s7, s7, s10
	s_sub_i32 s10, 0, s2
	s_mul_i32 s10, s10, s9
	s_load_dwordx8 s[36:43], s[4:5], 0x0
	s_load_dwordx2 s[34:35], s[4:5], 0x20
	s_load_dwordx8 s[44:51], s[4:5], 0xc0
	s_mul_hi_u32 s10, s9, s10
	s_waitcnt lgkmcnt(0)
	s_abs_i32 s51, s7
	s_add_i32 s9, s9, s10
	s_mul_hi_u32 s52, s51, s9
	s_sub_i32 s9, 0, s1
	s_ashr_i32 s33, s7, 31
	s_mul_i32 s9, s9, s8
	s_mul_i32 s7, s7, s28
	;; [unrolled: 1-line block ×3, first 2 shown]
	s_mul_hi_u32 s9, s8, s9
	s_sub_i32 s54, s6, s7
	s_sub_i32 s6, s51, s52
	s_ashr_i32 s3, s3, 31
	s_add_i32 s8, s8, s9
	s_sub_i32 s7, s6, s2
	s_cmp_ge_u32 s6, s2
	s_cselect_b32 s6, s7, s6
	s_sub_i32 s7, s6, s2
	s_cmp_ge_u32 s6, s2
	s_cselect_b32 s2, s7, s6
	s_mul_hi_u32 s53, s0, s8
	s_xor_b32 s2, s2, s33
	s_sub_i32 s33, s2, s33
	s_xor_b32 s2, s26, s3
	s_mul_i32 s3, s53, s1
	s_sub_i32 s0, s0, s3
	s_add_i32 s3, s53, 1
	s_sub_i32 s6, s0, s1
	s_cmp_ge_u32 s0, s1
	s_cselect_b32 s3, s3, s53
	s_load_dwordx16 s[8:23], s[4:5], 0x28
	s_cselect_b32 s0, s6, s0
	s_add_i32 s6, s3, 1
	s_cmp_ge_u32 s0, s1
	s_cselect_b32 s0, s6, s3
	s_xor_b32 s0, s0, s2
	s_sub_i32 s60, s0, s2
	s_ashr_i32 s51, s33, 31
	s_waitcnt lgkmcnt(0)
	s_mul_i32 s0, s16, s51
	s_mul_hi_u32 s1, s16, s33
	s_ashr_i32 s61, s60, 31
	s_ashr_i32 s52, s54, 31
	s_add_i32 s0, s1, s0
	s_mul_i32 s1, s17, s33
	s_mul_i32 s2, s14, s61
	s_mul_hi_u32 s3, s14, s60
	s_mul_i32 s6, s12, s52
	s_mul_hi_u32 s7, s12, s54
	s_add_i32 s1, s0, s1
	s_mul_i32 s0, s16, s33
	s_add_i32 s2, s3, s2
	s_mul_i32 s3, s15, s60
	;; [unrolled: 2-line block ×3, first 2 shown]
	s_add_i32 s3, s2, s3
	s_add_i32 s7, s6, s7
	s_lshl_b64 s[0:1], s[0:1], 1
	s_mul_i32 s2, s14, s60
	s_add_u32 s6, s36, s0
	s_addc_u32 s13, s37, s1
	s_lshl_b64 s[0:1], s[2:3], 1
	s_add_u32 s16, s6, s0
	s_addc_u32 s13, s13, s1
	s_load_dwordx2 s[14:15], s[4:5], 0x98
	s_load_dwordx4 s[0:3], s[4:5], 0x88
	s_mul_i32 s6, s12, s54
	s_lshl_b64 s[6:7], s[6:7], 1
	s_add_u32 s26, s16, s6
	s_addc_u32 s28, s13, s7
	s_waitcnt lgkmcnt(0)
	s_mul_i32 s6, s14, s51
	s_mul_hi_u32 s7, s14, s33
	s_add_i32 s6, s7, s6
	s_mul_i32 s7, s15, s33
	s_mul_i32 s12, s2, s61
	s_mul_hi_u32 s13, s2, s60
	s_add_i32 s7, s6, s7
	s_mul_i32 s6, s14, s33
	s_add_i32 s12, s13, s12
	s_mul_i32 s3, s3, s60
	s_add_i32 s3, s12, s3
	s_lshl_b64 s[6:7], s[6:7], 1
	s_mul_i32 s2, s2, s60
	s_add_u32 s6, s34, s6
	s_addc_u32 s7, s35, s7
	s_lshl_b64 s[2:3], s[2:3], 1
	s_add_u32 s33, s6, s2
	s_addc_u32 s51, s7, s3
	v_cmp_neq_f64_e64 s[14:15], s[40:41], 1.0
	v_cmp_neq_f64_e64 s[16:17], s[42:43], 0
	s_cmp_gt_i32 s27, 0
	s_cselect_b64 s[2:3], -1, 0
	s_cmp_gt_i32 s49, 0
	s_cselect_b64 s[6:7], -1, 0
	;; [unrolled: 2-line block ×3, first 2 shown]
	s_abs_i32 s62, s25
	s_ashr_i32 s63, s31, 31
	s_abs_i32 s31, s31
	s_ashr_i32 s64, s44, 31
	s_abs_i32 s44, s44
	v_cvt_f32_u32_e32 v1, s62
	v_cvt_f32_u32_e32 v3, s31
	;; [unrolled: 1-line block ×3, first 2 shown]
	s_or_b64 s[14:15], s[14:15], s[16:17]
	s_mul_i32 s16, s22, s52
	s_mul_hi_u32 s17, s22, s54
	s_add_i32 s16, s17, s16
	s_mul_i32 s17, s23, s54
	v_rcp_iflag_f32_e32 v1, v1
	v_rcp_iflag_f32_e32 v3, v3
	;; [unrolled: 1-line block ×3, first 2 shown]
	s_add_i32 s17, s16, s17
	s_mul_i32 s16, s22, s54
	s_load_dword s22, s[4:5], 0xec
	s_load_dwordx8 s[52:59], s[4:5], 0x68
	v_mul_f32_e32 v1, 0x4f7ffffe, v1
	v_mul_f32_e32 v3, 0x4f7ffffe, v3
	;; [unrolled: 1-line block ×3, first 2 shown]
	v_cvt_u32_f32_e32 v1, v1
	v_cvt_u32_f32_e32 v3, v3
	;; [unrolled: 1-line block ×3, first 2 shown]
	s_waitcnt lgkmcnt(0)
	s_mul_i32 s4, s54, s61
	s_mul_hi_u32 s5, s54, s60
	s_add_i32 s4, s5, s4
	s_mul_i32 s5, s55, s60
	s_add_i32 s5, s4, s5
	s_mul_i32 s4, s54, s60
	s_and_b32 s60, s22, 0xffff
	s_sub_i32 s22, 0, s62
	s_sub_i32 s23, 0, s31
	s_sub_i32 s34, 0, s44
	v_mul_lo_u32 v2, s22, v1
	v_mul_lo_u32 v4, s23, v3
	;; [unrolled: 1-line block ×3, first 2 shown]
	s_lshl_b64 s[16:17], s[16:17], 1
	s_lshl_b64 s[4:5], s[4:5], 1
	s_ashr_i32 s61, s25, 31
	v_mul_hi_u32 v2, v1, v2
	v_mul_hi_u32 v4, v3, v4
	;; [unrolled: 1-line block ×3, first 2 shown]
	s_add_u32 s4, s16, s4
	s_addc_u32 s5, s17, s5
	s_add_u32 s4, s38, s4
	s_addc_u32 s5, s39, s5
	v_add_u32_e32 v5, v1, v2
	v_mov_b32_e32 v6, 0
	v_add_u32_e32 v7, v3, v4
	v_add_u32_e32 v8, v8, v9
	s_mov_b32 s65, 0x7f800000
	s_mov_b64 s[16:17], 0
	s_lshl_b64 s[22:23], s[52:53], 1
	s_lshl_b64 s[20:21], s[20:21], 1
	;; [unrolled: 1-line block ×3, first 2 shown]
	s_branch .LBB29_3
.LBB29_2:                               ;   in Loop: Header=BB29_3 Depth=1
	v_add_u32_e32 v0, s60, v0
	v_cmp_le_i32_e32 vcc, s24, v0
	s_or_b64 s[16:17], vcc, s[16:17]
	s_andn2_b64 exec, exec, s[16:17]
	s_cbranch_execz .LBB29_31
.LBB29_3:                               ; =>This Loop Header: Depth=1
                                        ;     Child Loop BB29_6 Depth 2
                                        ;       Child Loop BB29_9 Depth 3
                                        ;         Child Loop BB29_18 Depth 4
	v_sub_u32_e32 v1, 0, v0
	v_max_i32_e32 v1, v0, v1
	v_mul_hi_u32 v2, v1, v5
	v_ashrrev_i32_e32 v4, 31, v0
	v_xor_b32_e32 v4, s61, v4
	v_mul_lo_u32 v3, v2, s62
	v_add_u32_e32 v9, 1, v2
	v_sub_u32_e32 v1, v1, v3
	v_cmp_le_u32_e32 vcc, s62, v1
	v_subrev_u32_e32 v3, s62, v1
	v_cndmask_b32_e32 v2, v2, v9, vcc
	v_cndmask_b32_e32 v1, v1, v3, vcc
	v_add_u32_e32 v3, 1, v2
	v_cmp_le_u32_e32 vcc, s62, v1
	v_cndmask_b32_e32 v1, v2, v3, vcc
	v_xor_b32_e32 v1, v1, v4
	v_sub_u32_e32 v3, v1, v4
	v_mul_lo_u32 v1, v3, s25
	s_andn2_b64 vcc, exec, s[2:3]
	v_sub_u32_e32 v9, v0, v1
	s_cbranch_vccnz .LBB29_26
; %bb.4:                                ;   in Loop: Header=BB29_3 Depth=1
	v_mov_b32_e32 v1, 0
	v_add_u32_e32 v4, s47, v3
	v_add_u32_e32 v10, s48, v9
	v_mov_b32_e32 v2, 0
	s_mov_b32 s66, 0
	s_mov_b64 s[34:35], s[4:5]
	s_branch .LBB29_6
.LBB29_5:                               ;   in Loop: Header=BB29_6 Depth=2
	s_add_i32 s66, s66, 1
	s_add_u32 s34, s34, s22
	s_addc_u32 s35, s35, s23
	s_cmp_eq_u32 s66, s27
	s_cbranch_scc1 .LBB29_27
.LBB29_6:                               ;   Parent Loop BB29_3 Depth=1
                                        ; =>  This Loop Header: Depth=2
                                        ;       Child Loop BB29_9 Depth 3
                                        ;         Child Loop BB29_18 Depth 4
	s_andn2_b64 vcc, exec, s[6:7]
	s_cbranch_vccnz .LBB29_5
; %bb.7:                                ;   in Loop: Header=BB29_6 Depth=2
	s_mul_i32 s36, s1, s66
	s_mul_hi_u32 s37, s0, s66
	s_add_i32 s37, s37, s36
	s_mul_i32 s36, s0, s66
	s_lshl_b64 s[36:37], s[36:37], 1
	s_add_u32 s67, s33, s36
	s_addc_u32 s68, s51, s37
	s_mov_b32 s69, 0
	s_mov_b64 s[36:37], s[34:35]
	s_branch .LBB29_9
.LBB29_8:                               ;   in Loop: Header=BB29_9 Depth=3
	s_add_i32 s69, s69, 1
	s_add_u32 s36, s36, s20
	s_addc_u32 s37, s37, s21
	s_cmp_eq_u32 s69, s49
	s_cbranch_scc1 .LBB29_5
.LBB29_9:                               ;   Parent Loop BB29_3 Depth=1
                                        ;     Parent Loop BB29_6 Depth=2
                                        ; =>    This Loop Header: Depth=3
                                        ;         Child Loop BB29_18 Depth 4
	s_mul_i32 s38, s45, s69
	v_subrev_u32_e32 v15, s38, v4
	v_cmp_lt_i32_e32 vcc, -1, v15
	s_mov_b64 s[38:39], 0
                                        ; implicit-def: $vgpr13
                                        ; implicit-def: $vgpr11
                                        ; implicit-def: $vgpr12
                                        ; implicit-def: $vgpr14
	s_and_saveexec_b64 s[52:53], vcc
	s_xor_b64 s[52:53], exec, s[52:53]
	s_cbranch_execnz .LBB29_13
; %bb.10:                               ;   in Loop: Header=BB29_9 Depth=3
	s_andn2_saveexec_b64 s[52:53], s[52:53]
	s_cbranch_execnz .LBB29_14
.LBB29_11:                              ;   in Loop: Header=BB29_9 Depth=3
	s_or_b64 exec, exec, s[52:53]
	v_mov_b32_e32 v15, 1
	s_and_saveexec_b64 s[52:53], s[38:39]
	s_cbranch_execnz .LBB29_15
.LBB29_12:                              ;   in Loop: Header=BB29_9 Depth=3
	s_or_b64 exec, exec, s[52:53]
	s_andn2_b64 vcc, exec, s[12:13]
	s_cbranch_vccz .LBB29_16
	s_branch .LBB29_8
.LBB29_13:                              ;   in Loop: Header=BB29_9 Depth=3
	v_sub_u32_e32 v11, 0, v15
	v_max_i32_e32 v12, v15, v11
	v_mul_hi_u32 v11, v12, v7
	v_ashrrev_i32_e32 v13, 31, v15
	v_mul_lo_u32 v14, v11, s31
	v_sub_u32_e32 v12, v12, v14
	v_subrev_u32_e32 v14, s31, v12
	v_cmp_le_u32_e32 vcc, s31, v12
	v_cndmask_b32_e32 v15, v12, v14, vcc
	v_subrev_u32_e32 v16, s31, v15
	v_cmp_le_u32_e32 vcc, s31, v15
	v_cndmask_b32_e32 v15, v15, v16, vcc
	v_xor_b32_e32 v15, v15, v13
	v_sub_u32_e32 v15, v15, v13
	v_cmp_ne_u32_e32 vcc, 0, v15
	s_and_b64 s[38:39], vcc, exec
                                        ; implicit-def: $vgpr15
	s_andn2_saveexec_b64 s[52:53], s[52:53]
	s_cbranch_execz .LBB29_11
.LBB29_14:                              ;   in Loop: Header=BB29_9 Depth=3
	v_sub_u32_e32 v11, 0, v15
	v_max_i32_e32 v12, v15, v11
	v_mul_hi_u32 v11, v12, v7
	v_ashrrev_i32_e32 v13, 31, v15
	s_or_b64 s[38:39], s[38:39], exec
	v_mul_lo_u32 v14, v11, s31
	v_sub_u32_e32 v12, v12, v14
	v_subrev_u32_e32 v14, s31, v12
	s_or_b64 exec, exec, s[52:53]
	v_mov_b32_e32 v15, 1
	s_and_saveexec_b64 s[52:53], s[38:39]
	s_cbranch_execz .LBB29_12
.LBB29_15:                              ;   in Loop: Header=BB29_9 Depth=3
	v_mov_b32_e32 v15, 0
	s_or_b64 exec, exec, s[52:53]
	s_andn2_b64 vcc, exec, s[12:13]
	s_cbranch_vccnz .LBB29_8
.LBB29_16:                              ;   in Loop: Header=BB29_9 Depth=3
	v_add_u32_e32 v16, 1, v11
	v_cmp_le_u32_e32 vcc, s31, v12
	v_cndmask_b32_e32 v11, v11, v16, vcc
	v_cndmask_b32_e32 v12, v12, v14, vcc
	v_add_u32_e32 v14, 1, v11
	v_cmp_le_u32_e32 vcc, s31, v12
	v_xor_b32_e32 v13, s63, v13
	v_cndmask_b32_e32 v11, v11, v14, vcc
	v_xor_b32_e32 v11, v11, v13
	v_sub_u32_e32 v11, v11, v13
	v_ashrrev_i32_e32 v12, 31, v11
	v_mul_lo_u32 v14, s58, v12
	v_mul_lo_u32 v16, s59, v11
	v_mad_u64_u32 v[12:13], s[38:39], s58, v11, 0
	v_cmp_gt_i32_e32 vcc, s29, v11
	v_cndmask_b32_e32 v11, 0, v15, vcc
	v_add3_u32 v13, v13, v14, v16
	v_lshlrev_b64 v[12:13], 1, v[12:13]
	v_mov_b32_e32 v14, s68
	v_add_co_u32_e32 v12, vcc, s67, v12
	v_addc_co_u32_e32 v13, vcc, v14, v13, vcc
	s_mov_b64 s[38:39], s[36:37]
	s_mov_b32 s70, s50
	v_mov_b32_e32 v14, v10
	s_branch .LBB29_18
.LBB29_17:                              ;   in Loop: Header=BB29_18 Depth=4
	s_or_b64 exec, exec, s[52:53]
	s_add_i32 s70, s70, -1
	s_add_u32 s38, s38, s18
	s_addc_u32 s39, s39, s19
	s_cmp_eq_u32 s70, 0
	v_subrev_u32_e32 v14, s46, v14
	s_cbranch_scc1 .LBB29_8
.LBB29_18:                              ;   Parent Loop BB29_3 Depth=1
                                        ;     Parent Loop BB29_6 Depth=2
                                        ;       Parent Loop BB29_9 Depth=3
                                        ; =>      This Inner Loop Header: Depth=4
	v_cmp_lt_i32_e32 vcc, -1, v14
	s_mov_b64 s[52:53], 0
	v_sub_u32_e32 v19, 0, v14
                                        ; implicit-def: $vgpr17
                                        ; implicit-def: $vgpr15
                                        ; implicit-def: $vgpr16
                                        ; implicit-def: $vgpr18
	s_and_saveexec_b64 s[54:55], vcc
	s_xor_b64 s[54:55], exec, s[54:55]
	s_cbranch_execnz .LBB29_24
; %bb.19:                               ;   in Loop: Header=BB29_18 Depth=4
	s_andn2_saveexec_b64 s[54:55], s[54:55]
	s_cbranch_execnz .LBB29_25
.LBB29_20:                              ;   in Loop: Header=BB29_18 Depth=4
	s_or_b64 exec, exec, s[54:55]
	v_mov_b32_e32 v19, 1
	s_and_saveexec_b64 s[54:55], s[52:53]
.LBB29_21:                              ;   in Loop: Header=BB29_18 Depth=4
	v_mov_b32_e32 v19, 0
.LBB29_22:                              ;   in Loop: Header=BB29_18 Depth=4
	s_or_b64 exec, exec, s[54:55]
	v_add_u32_e32 v20, 1, v15
	v_cmp_le_u32_e32 vcc, s44, v16
	v_cndmask_b32_e32 v15, v15, v20, vcc
	v_cndmask_b32_e32 v16, v16, v18, vcc
	v_add_u32_e32 v18, 1, v15
	v_cmp_le_u32_e32 vcc, s44, v16
	v_xor_b32_e32 v17, s64, v17
	v_cndmask_b32_e32 v15, v15, v18, vcc
	v_xor_b32_e32 v15, v15, v17
	v_sub_u32_e32 v15, v15, v17
	v_cmp_gt_i32_e32 vcc, s30, v15
	v_cndmask_b32_e32 v16, 0, v19, vcc
	v_and_b32_e32 v16, v16, v11
	v_and_b32_e32 v16, 1, v16
	v_cmp_eq_u32_e32 vcc, 1, v16
	s_and_saveexec_b64 s[52:53], vcc
	s_cbranch_execz .LBB29_17
; %bb.23:                               ;   in Loop: Header=BB29_18 Depth=4
	v_ashrrev_i32_e32 v17, 31, v15
	v_mul_lo_u32 v18, s57, v15
	v_mad_u64_u32 v[15:16], s[54:55], s56, v15, 0
	v_mul_lo_u32 v17, s56, v17
	v_add3_u32 v16, v16, v17, v18
	v_lshlrev_b64 v[15:16], 1, v[15:16]
	v_add_co_u32_e32 v15, vcc, v12, v15
	v_addc_co_u32_e32 v16, vcc, v13, v16, vcc
	global_load_ushort v17, v6, s[38:39]
	s_nop 0
	global_load_ushort v15, v[15:16], off
	s_waitcnt vmcnt(1)
	v_lshlrev_b32_e32 v17, 16, v17
	s_waitcnt vmcnt(0)
	v_lshlrev_b32_e32 v15, 16, v15
	v_cvt_f64_f32_e32 v[15:16], v15
	v_cvt_f64_f32_e32 v[17:18], v17
	v_fma_f64 v[1:2], v[15:16], v[17:18], v[1:2]
	s_branch .LBB29_17
.LBB29_24:                              ;   in Loop: Header=BB29_18 Depth=4
	v_max_i32_e32 v16, v14, v19
	v_mul_hi_u32 v15, v16, v8
	v_ashrrev_i32_e32 v17, 31, v14
	v_mul_lo_u32 v18, v15, s44
	v_sub_u32_e32 v16, v16, v18
	v_subrev_u32_e32 v18, s44, v16
	v_cmp_le_u32_e32 vcc, s44, v16
	v_cndmask_b32_e32 v19, v16, v18, vcc
	v_subrev_u32_e32 v20, s44, v19
	v_cmp_le_u32_e32 vcc, s44, v19
	v_cndmask_b32_e32 v19, v19, v20, vcc
	v_xor_b32_e32 v19, v19, v17
	v_sub_u32_e32 v19, v19, v17
	v_cmp_ne_u32_e32 vcc, 0, v19
	s_and_b64 s[52:53], vcc, exec
                                        ; implicit-def: $vgpr19
	s_andn2_saveexec_b64 s[54:55], s[54:55]
	s_cbranch_execz .LBB29_20
.LBB29_25:                              ;   in Loop: Header=BB29_18 Depth=4
	v_max_i32_e32 v16, v14, v19
	v_mul_hi_u32 v15, v16, v8
	v_ashrrev_i32_e32 v17, 31, v14
	s_or_b64 s[52:53], s[52:53], exec
	v_mul_lo_u32 v18, v15, s44
	v_sub_u32_e32 v16, v16, v18
	v_subrev_u32_e32 v18, s44, v16
	s_or_b64 exec, exec, s[54:55]
	v_mov_b32_e32 v19, 1
	s_and_saveexec_b64 s[54:55], s[52:53]
	s_cbranch_execnz .LBB29_21
	s_branch .LBB29_22
.LBB29_26:                              ;   in Loop: Header=BB29_3 Depth=1
	v_mov_b32_e32 v1, 0
	v_mov_b32_e32 v2, 0
.LBB29_27:                              ;   in Loop: Header=BB29_3 Depth=1
	v_ashrrev_i32_e32 v10, 31, v3
	v_mul_lo_u32 v11, s11, v3
	v_mad_u64_u32 v[3:4], s[34:35], s10, v3, 0
	v_mul_lo_u32 v10, s10, v10
	s_and_b64 vcc, exec, s[14:15]
	v_add3_u32 v4, v4, v10, v11
	v_ashrrev_i32_e32 v10, 31, v9
	v_mad_u64_u32 v[3:4], s[34:35], s8, v9, v[3:4]
	v_mul_lo_u32 v9, s9, v9
	v_mul_lo_u32 v10, s8, v10
	s_mov_b64 s[34:35], -1
	v_add3_u32 v4, v9, v4, v10
	s_cbranch_vccz .LBB29_29
; %bb.28:                               ;   in Loop: Header=BB29_3 Depth=1
	v_lshlrev_b64 v[9:10], 1, v[3:4]
	v_mov_b32_e32 v11, s28
	v_add_co_u32_e32 v9, vcc, s26, v9
	v_addc_co_u32_e32 v10, vcc, v11, v10, vcc
	global_load_ushort v11, v[9:10], off
	s_waitcnt vmcnt(0)
	v_lshlrev_b32_e32 v11, 16, v11
	v_cvt_f64_f32_e32 v[11:12], v11
	v_mul_f64 v[11:12], s[42:43], v[11:12]
	v_fma_f64 v[11:12], s[40:41], v[1:2], v[11:12]
	v_cvt_f32_f64_e32 v11, v[11:12]
	v_and_b32_e32 v12, 0x7f800000, v11
	v_cmp_ne_u32_sdwa s[34:35], v11, v6 src0_sel:WORD_0 src1_sel:DWORD
	v_cmp_eq_u32_e32 vcc, s65, v12
	s_and_b64 s[34:35], vcc, s[34:35]
	v_cndmask_b32_e64 v12, 0, 1, s[34:35]
	v_or_b32_sdwa v11, v11, v12 dst_sel:DWORD dst_unused:UNUSED_PAD src0_sel:WORD_1 src1_sel:DWORD
	global_store_short v[9:10], v11, off
	s_mov_b64 s[34:35], 0
.LBB29_29:                              ;   in Loop: Header=BB29_3 Depth=1
	s_andn2_b64 vcc, exec, s[34:35]
	s_cbranch_vccnz .LBB29_2
; %bb.30:                               ;   in Loop: Header=BB29_3 Depth=1
	v_cvt_f32_f64_e32 v9, v[1:2]
	v_lshlrev_b64 v[1:2], 1, v[3:4]
	v_mov_b32_e32 v4, s28
	v_and_b32_e32 v3, 0x7f800000, v9
	v_cmp_ne_u32_sdwa s[34:35], v9, v6 src0_sel:WORD_0 src1_sel:DWORD
	v_cmp_eq_u32_e32 vcc, s65, v3
	s_and_b64 s[34:35], vcc, s[34:35]
	v_cndmask_b32_e64 v3, 0, 1, s[34:35]
	v_add_co_u32_e32 v1, vcc, s26, v1
	v_or_b32_sdwa v3, v9, v3 dst_sel:DWORD dst_unused:UNUSED_PAD src0_sel:WORD_1 src1_sel:DWORD
	v_addc_co_u32_e32 v2, vcc, v4, v2, vcc
	global_store_short v[1:2], v3, off
	s_branch .LBB29_2
.LBB29_31:
	s_endpgm
	.section	.rodata,"a",@progbits
	.p2align	6, 0x0
	.amdhsa_kernel naive_conv_ab_nonpacked_bwd_nchw_ushort_double_ushort
		.amdhsa_group_segment_fixed_size 0
		.amdhsa_private_segment_fixed_size 0
		.amdhsa_kernarg_size 480
		.amdhsa_user_sgpr_count 6
		.amdhsa_user_sgpr_private_segment_buffer 1
		.amdhsa_user_sgpr_dispatch_ptr 0
		.amdhsa_user_sgpr_queue_ptr 0
		.amdhsa_user_sgpr_kernarg_segment_ptr 1
		.amdhsa_user_sgpr_dispatch_id 0
		.amdhsa_user_sgpr_flat_scratch_init 0
		.amdhsa_user_sgpr_private_segment_size 0
		.amdhsa_uses_dynamic_stack 0
		.amdhsa_system_sgpr_private_segment_wavefront_offset 0
		.amdhsa_system_sgpr_workgroup_id_x 1
		.amdhsa_system_sgpr_workgroup_id_y 0
		.amdhsa_system_sgpr_workgroup_id_z 0
		.amdhsa_system_sgpr_workgroup_info 0
		.amdhsa_system_vgpr_workitem_id 0
		.amdhsa_next_free_vgpr 21
		.amdhsa_next_free_sgpr 71
		.amdhsa_reserve_vcc 1
		.amdhsa_reserve_flat_scratch 0
		.amdhsa_float_round_mode_32 0
		.amdhsa_float_round_mode_16_64 0
		.amdhsa_float_denorm_mode_32 3
		.amdhsa_float_denorm_mode_16_64 3
		.amdhsa_dx10_clamp 1
		.amdhsa_ieee_mode 1
		.amdhsa_fp16_overflow 0
		.amdhsa_exception_fp_ieee_invalid_op 0
		.amdhsa_exception_fp_denorm_src 0
		.amdhsa_exception_fp_ieee_div_zero 0
		.amdhsa_exception_fp_ieee_overflow 0
		.amdhsa_exception_fp_ieee_underflow 0
		.amdhsa_exception_fp_ieee_inexact 0
		.amdhsa_exception_int_div_zero 0
	.end_amdhsa_kernel
	.text
.Lfunc_end29:
	.size	naive_conv_ab_nonpacked_bwd_nchw_ushort_double_ushort, .Lfunc_end29-naive_conv_ab_nonpacked_bwd_nchw_ushort_double_ushort
                                        ; -- End function
	.set naive_conv_ab_nonpacked_bwd_nchw_ushort_double_ushort.num_vgpr, 21
	.set naive_conv_ab_nonpacked_bwd_nchw_ushort_double_ushort.num_agpr, 0
	.set naive_conv_ab_nonpacked_bwd_nchw_ushort_double_ushort.numbered_sgpr, 71
	.set naive_conv_ab_nonpacked_bwd_nchw_ushort_double_ushort.num_named_barrier, 0
	.set naive_conv_ab_nonpacked_bwd_nchw_ushort_double_ushort.private_seg_size, 0
	.set naive_conv_ab_nonpacked_bwd_nchw_ushort_double_ushort.uses_vcc, 1
	.set naive_conv_ab_nonpacked_bwd_nchw_ushort_double_ushort.uses_flat_scratch, 0
	.set naive_conv_ab_nonpacked_bwd_nchw_ushort_double_ushort.has_dyn_sized_stack, 0
	.set naive_conv_ab_nonpacked_bwd_nchw_ushort_double_ushort.has_recursion, 0
	.set naive_conv_ab_nonpacked_bwd_nchw_ushort_double_ushort.has_indirect_call, 0
	.section	.AMDGPU.csdata,"",@progbits
; Kernel info:
; codeLenInByte = 2188
; TotalNumSgprs: 75
; NumVgprs: 21
; ScratchSize: 0
; MemoryBound: 0
; FloatMode: 240
; IeeeMode: 1
; LDSByteSize: 0 bytes/workgroup (compile time only)
; SGPRBlocks: 9
; VGPRBlocks: 5
; NumSGPRsForWavesPerEU: 75
; NumVGPRsForWavesPerEU: 21
; Occupancy: 10
; WaveLimiterHint : 0
; COMPUTE_PGM_RSRC2:SCRATCH_EN: 0
; COMPUTE_PGM_RSRC2:USER_SGPR: 6
; COMPUTE_PGM_RSRC2:TRAP_HANDLER: 0
; COMPUTE_PGM_RSRC2:TGID_X_EN: 1
; COMPUTE_PGM_RSRC2:TGID_Y_EN: 0
; COMPUTE_PGM_RSRC2:TGID_Z_EN: 0
; COMPUTE_PGM_RSRC2:TIDIG_COMP_CNT: 0
	.text
	.protected	naive_conv_ab_packed_bwd_nhwc_float_double_float ; -- Begin function naive_conv_ab_packed_bwd_nhwc_float_double_float
	.globl	naive_conv_ab_packed_bwd_nhwc_float_double_float
	.p2align	8
	.type	naive_conv_ab_packed_bwd_nhwc_float_double_float,@function
naive_conv_ab_packed_bwd_nhwc_float_double_float: ; @naive_conv_ab_packed_bwd_nhwc_float_double_float
; %bb.0:
	s_load_dwordx16 s[8:23], s[4:5], 0xa0
	s_abs_i32 s1, s6
	s_waitcnt lgkmcnt(0)
	s_abs_i32 s0, s8
	v_cvt_f32_u32_e32 v1, s0
	s_sub_i32 s2, 0, s0
	v_rcp_iflag_f32_e32 v1, v1
	v_mul_f32_e32 v1, 0x4f7ffffe, v1
	v_cvt_u32_f32_e32 v1, v1
	v_readfirstlane_b32 s3, v1
	s_mul_i32 s2, s2, s3
	s_mul_hi_u32 s2, s3, s2
	s_add_i32 s3, s3, s2
	s_mul_hi_u32 s2, s1, s3
	s_mul_i32 s3, s2, s0
	s_sub_i32 s1, s1, s3
	s_add_i32 s7, s2, 1
	s_sub_i32 s3, s1, s0
	s_cmp_ge_u32 s1, s0
	s_cselect_b32 s2, s7, s2
	s_cselect_b32 s1, s3, s1
	s_add_i32 s3, s2, 1
	s_cmp_ge_u32 s1, s0
	s_cselect_b32 s1, s3, s2
	s_abs_i32 s0, s10
	v_cvt_f32_u32_e32 v1, s0
	s_mul_i32 s10, s23, s12
	s_mul_i32 s33, s10, s9
	v_cmp_gt_i32_e32 vcc, s33, v0
	v_rcp_iflag_f32_e32 v1, v1
	v_mul_f32_e32 v1, 0x4f7ffffe, v1
	v_cvt_u32_f32_e32 v1, v1
	v_readfirstlane_b32 s2, v1
	s_and_saveexec_b64 s[24:25], vcc
	s_cbranch_execz .LBB30_28
; %bb.1:
	s_xor_b32 s3, s6, s8
	s_ashr_i32 s3, s3, 31
	s_sub_i32 s34, 0, s0
	s_xor_b32 s1, s1, s3
	s_mul_i32 s34, s34, s2
	s_sub_i32 s1, s1, s3
	s_mul_hi_u32 s34, s2, s34
	s_abs_i32 s7, s1
	s_add_i32 s2, s2, s34
	s_mul_hi_u32 s2, s7, s2
	s_ashr_i32 s3, s1, 31
	s_mul_i32 s1, s1, s8
	s_mul_i32 s2, s2, s0
	s_sub_i32 s6, s6, s1
	s_sub_i32 s1, s7, s2
	;; [unrolled: 1-line block ×3, first 2 shown]
	s_cmp_ge_u32 s1, s0
	s_cselect_b32 s1, s2, s1
	s_sub_i32 s2, s1, s0
	s_cmp_ge_u32 s1, s0
	s_cselect_b32 s0, s2, s1
	s_xor_b32 s0, s0, s3
	s_sub_i32 s38, s0, s3
	s_ashr_i32 s39, s38, 31
	s_mul_i32 s1, s38, s8
	s_ashr_i32 s52, s10, 31
	s_ashr_i32 s2, s6, 31
	s_mul_hi_i32 s0, s38, s8
	s_add_u32 s3, s1, s6
	s_load_dwordx8 s[24:31], s[4:5], 0x0
	s_addc_u32 s0, s0, s2
	s_mul_hi_i32 s1, s10, s9
	s_mul_i32 s0, s33, s0
	s_mul_hi_u32 s2, s33, s3
	s_add_i32 s0, s2, s0
	s_mul_i32 s1, s1, s3
	s_add_i32 s1, s0, s1
	s_mul_i32 s0, s33, s3
	s_lshl_b64 s[0:1], s[0:1], 2
	s_mul_i32 s23, s23, s11
	s_waitcnt lgkmcnt(0)
	s_add_u32 s53, s24, s0
	s_addc_u32 s54, s25, s1
	s_ashr_i32 s56, s23, 31
	s_cmp_lt_i32 s21, 1
	s_cselect_b64 s[2:3], -1, 0
	s_add_i32 s19, s6, s19
	s_cmp_gt_i32 s22, 0
	s_cselect_b64 s[6:7], -1, 0
	s_cmp_gt_i32 s11, 0
	s_cselect_b64 s[8:9], -1, 0
	s_abs_i32 s57, s10
	v_cvt_f32_u32_e32 v1, s57
	v_cmp_neq_f64_e64 s[34:35], s[28:29], 1.0
	v_cmp_neq_f64_e64 s[36:37], s[30:31], 0
	s_abs_i32 s58, s12
	v_rcp_iflag_f32_e32 v1, v1
	v_cvt_f32_u32_e32 v2, s58
	s_abs_i32 s60, s16
	s_abs_i32 s61, s15
	v_mul_f32_e32 v1, 0x4f7ffffe, v1
	v_rcp_iflag_f32_e32 v2, v2
	v_cvt_u32_f32_e32 v1, v1
	s_or_b64 s[34:35], s[34:35], s[36:37]
	s_load_dwordx2 s[36:37], s[4:5], 0x20
	s_nop 0
	s_load_dword s4, s[4:5], 0xec
	s_sub_i32 s5, 0, s57
	v_mul_f32_e32 v2, 0x4f7ffffe, v2
	v_mul_lo_u32 v3, s5, v1
	v_cvt_u32_f32_e32 v2, v2
	s_waitcnt lgkmcnt(0)
	s_and_b32 s59, s4, 0xffff
	s_sub_i32 s4, 0, s58
	v_mul_hi_u32 v3, v1, v3
	v_mul_lo_u32 v4, s4, v2
	v_cvt_f32_u32_e32 v5, s60
	v_cvt_f32_u32_e32 v6, s61
	v_add_u32_e32 v15, v1, v3
	v_mul_hi_u32 v4, v2, v4
	v_rcp_iflag_f32_e32 v5, v5
	v_rcp_iflag_f32_e32 v1, v6
	s_sub_i32 s4, 0, s60
	v_add_u32_e32 v16, v2, v4
	v_mul_f32_e32 v2, 0x4f7ffffe, v5
	v_mul_f32_e32 v1, 0x4f7ffffe, v1
	v_cvt_u32_f32_e32 v2, v2
	v_cvt_u32_f32_e32 v1, v1
	s_mov_b32 s55, s13
	s_ashr_i32 s1, s11, 31
	v_mul_lo_u32 v3, s4, v2
	s_sub_i32 s4, 0, s61
	v_readfirstlane_b32 s5, v1
	s_mul_i32 s4, s4, s5
	s_mul_hi_u32 s4, s5, s4
	s_add_i32 s62, s5, s4
	s_mul_i32 s5, s14, s13
	s_mul_hi_i32 s4, s14, s13
	s_mul_i32 s13, s5, s39
	s_mul_hi_u32 s39, s5, s38
	s_mov_b32 s0, s11
	s_ashr_i32 s40, s21, 31
	s_add_i32 s13, s39, s13
	s_mul_i32 s4, s4, s38
	s_mul_i32 s42, s22, s12
	s_add_i32 s39, s13, s4
	s_mul_i32 s38, s5, s38
	s_lshl_b64 s[4:5], s[0:1], 2
	s_mul_i32 s0, s42, s40
	s_mul_hi_u32 s13, s42, s21
	s_mul_hi_i32 s43, s22, s12
	v_mul_hi_u32 v1, v2, v3
	s_add_i32 s0, s13, s0
	s_mul_i32 s13, s43, s21
	s_mul_i32 s44, s42, s21
	s_add_i32 s45, s0, s13
	s_mul_i32 s0, s44, s1
	s_mul_hi_u32 s1, s44, s11
	s_add_i32 s0, s1, s0
	s_mul_i32 s1, s45, s11
	s_ashr_i32 s25, s12, 31
	s_mov_b32 s24, s12
	s_add_i32 s1, s0, s1
	s_mul_i32 s0, s44, s11
	s_ashr_i32 s15, s15, 31
	v_add_u32_e32 v17, v2, v1
	s_lshl_b64 s[38:39], s[38:39], 2
	s_lshl_b64 s[40:41], s[0:1], 2
	;; [unrolled: 1-line block ×4, first 2 shown]
	s_ashr_i32 s13, s16, 31
	s_mov_b64 s[46:47], 0
	s_lshl_b64 s[48:49], s[24:25], 2
	s_branch .LBB30_3
.LBB30_2:                               ;   in Loop: Header=BB30_3 Depth=1
	v_cvt_f32_f64_e32 v3, v[3:4]
	v_add_u32_e32 v0, s59, v0
	v_cmp_le_i32_e32 vcc, s33, v0
	s_or_b64 s[46:47], vcc, s[46:47]
	global_store_dword v[1:2], v3, off
	s_andn2_b64 exec, exec, s[46:47]
	s_cbranch_execz .LBB30_28
.LBB30_3:                               ; =>This Loop Header: Depth=1
                                        ;     Child Loop BB30_8 Depth 2
                                        ;       Child Loop BB30_17 Depth 3
                                        ;         Child Loop BB30_24 Depth 4
	v_sub_u32_e32 v1, 0, v0
	v_max_i32_e32 v1, v0, v1
	v_mul_hi_u32 v2, v1, v15
	v_ashrrev_i32_e32 v4, 31, v0
	v_xor_b32_e32 v4, s52, v4
	s_mov_b64 s[0:1], -1
	v_mul_lo_u32 v3, v2, s57
	v_add_u32_e32 v5, 1, v2
	v_sub_u32_e32 v1, v1, v3
	v_cmp_le_u32_e32 vcc, s57, v1
	v_subrev_u32_e32 v3, s57, v1
	v_cndmask_b32_e32 v2, v2, v5, vcc
	v_cndmask_b32_e32 v1, v1, v3, vcc
	v_add_u32_e32 v3, 1, v2
	v_cmp_le_u32_e32 vcc, s57, v1
	v_cndmask_b32_e32 v1, v2, v3, vcc
	v_xor_b32_e32 v1, v1, v4
	v_sub_u32_e32 v18, v1, v4
	v_mul_lo_u32 v1, v18, s10
	v_sub_u32_e32 v7, v0, v1
	v_sub_u32_e32 v1, 0, v7
	v_max_i32_e32 v1, v7, v1
	v_mul_hi_u32 v2, v1, v16
	v_ashrrev_i32_e32 v8, 31, v7
	v_xor_b32_e32 v4, s25, v8
	v_mul_lo_u32 v3, v2, s58
	v_add_u32_e32 v5, 1, v2
	v_sub_u32_e32 v1, v1, v3
	v_cmp_le_u32_e32 vcc, s58, v1
	v_subrev_u32_e32 v3, s58, v1
	v_cndmask_b32_e32 v2, v2, v5, vcc
	v_cndmask_b32_e32 v1, v1, v3, vcc
	v_add_u32_e32 v3, 1, v2
	v_cmp_le_u32_e32 vcc, s58, v1
	v_cndmask_b32_e32 v1, v2, v3, vcc
	v_xor_b32_e32 v1, v1, v4
	v_sub_u32_e32 v19, v1, v4
	v_mul_lo_u32 v9, v19, s12
	s_andn2_b64 vcc, exec, s[2:3]
	v_ashrrev_i32_e32 v20, 31, v19
	v_sub_u32_e32 v1, v7, v9
	v_ashrrev_i32_e32 v2, 31, v1
	s_cbranch_vccnz .LBB30_5
; %bb.4:                                ;   in Loop: Header=BB30_3 Depth=1
	s_mov_b64 s[0:1], 0
.LBB30_5:                               ;   in Loop: Header=BB30_3 Depth=1
	v_mov_b32_e32 v3, 0
	v_mov_b32_e32 v4, 0
	s_andn2_b64 vcc, exec, s[0:1]
	s_cbranch_vccnz .LBB30_26
; %bb.6:                                ;   in Loop: Header=BB30_3 Depth=1
	v_mov_b32_e32 v3, s36
	v_mov_b32_e32 v4, s37
	v_mad_u64_u32 v[5:6], s[0:1], s4, v19, v[3:4]
	v_lshlrev_b64 v[3:4], 2, v[7:8]
	v_mul_lo_u32 v10, s5, v19
	v_mul_lo_u32 v11, s4, v20
	;; [unrolled: 1-line block ×4, first 2 shown]
	v_mad_u64_u32 v[3:4], s[0:1], s40, v19, v[3:4]
	v_add3_u32 v6, v10, v6, v11
	v_ashrrev_i32_e32 v10, 31, v9
	v_add3_u32 v4, v7, v4, v8
	v_lshlrev_b64 v[7:8], 2, v[9:10]
	v_add_u32_e32 v21, s20, v18
	v_sub_co_u32_e32 v3, vcc, v3, v7
	v_subb_co_u32_e32 v4, vcc, v4, v8, vcc
	v_mov_b32_e32 v8, s27
	v_add_co_u32_e32 v7, vcc, s26, v3
	v_addc_co_u32_e32 v8, vcc, v8, v4, vcc
	v_mov_b32_e32 v3, 0
	v_mov_b32_e32 v4, 0
	s_mov_b32 s16, 0
	s_branch .LBB30_8
.LBB30_7:                               ;   in Loop: Header=BB30_8 Depth=2
	s_add_i32 s16, s16, 1
	v_mov_b32_e32 v9, s43
	v_add_co_u32_e32 v7, vcc, s42, v7
	s_cmp_eq_u32 s16, s21
	v_addc_co_u32_e32 v8, vcc, v8, v9, vcc
	s_cbranch_scc1 .LBB30_26
.LBB30_8:                               ;   Parent Loop BB30_3 Depth=1
                                        ; =>  This Loop Header: Depth=2
                                        ;       Child Loop BB30_17 Depth 3
                                        ;         Child Loop BB30_24 Depth 4
	s_mul_i32 s0, s17, s16
	s_sub_i32 s67, s19, s0
	s_cmp_gt_i32 s67, -1
	s_cbranch_scc0 .LBB30_10
; %bb.9:                                ;   in Loop: Header=BB30_8 Depth=2
	s_abs_i32 s0, s67
	s_mul_hi_u32 s64, s0, s62
	s_mul_i32 s1, s64, s61
	s_sub_i32 s65, s0, s1
	s_ashr_i32 s63, s67, 31
	s_sub_i32 s66, s65, s61
	s_cmp_ge_u32 s65, s61
	s_cselect_b32 s0, s66, s65
	s_sub_i32 s1, s0, s61
	s_cmp_ge_u32 s0, s61
	s_cselect_b32 s0, s1, s0
	s_xor_b32 s0, s0, s63
	s_sub_i32 s0, s0, s63
	s_cmp_lg_u32 s0, 0
	s_cselect_b64 s[0:1], -1, 0
	s_cbranch_execz .LBB30_11
	s_branch .LBB30_12
.LBB30_10:                              ;   in Loop: Header=BB30_8 Depth=2
	s_mov_b64 s[0:1], 0
                                        ; implicit-def: $sgpr63
                                        ; implicit-def: $sgpr64
                                        ; implicit-def: $sgpr65
                                        ; implicit-def: $sgpr66
.LBB30_11:                              ;   in Loop: Header=BB30_8 Depth=2
	s_abs_i32 s0, s67
	s_mul_hi_u32 s64, s0, s62
	s_mul_i32 s1, s64, s61
	s_sub_i32 s65, s0, s1
	s_ashr_i32 s63, s67, 31
	s_sub_i32 s66, s65, s61
	s_mov_b64 s[0:1], -1
.LBB30_12:                              ;   in Loop: Header=BB30_8 Depth=2
	s_andn2_b64 vcc, exec, s[0:1]
	s_mov_b32 s0, 1
	s_cbranch_vccz .LBB30_14
; %bb.13:                               ;   in Loop: Header=BB30_8 Depth=2
	s_andn2_b64 vcc, exec, s[6:7]
	s_cbranch_vccz .LBB30_15
	s_branch .LBB30_7
.LBB30_14:                              ;   in Loop: Header=BB30_8 Depth=2
	s_mov_b32 s0, 0
	s_andn2_b64 vcc, exec, s[6:7]
	s_cbranch_vccnz .LBB30_7
.LBB30_15:                              ;   in Loop: Header=BB30_8 Depth=2
	s_xor_b32 s1, s63, s15
	s_add_i32 s50, s64, 1
	s_cmp_ge_u32 s65, s61
	s_cselect_b32 s50, s50, s64
	s_cselect_b32 s51, s66, s65
	s_add_i32 s63, s50, 1
	s_cmp_ge_u32 s51, s61
	s_cselect_b32 s50, s63, s50
	s_xor_b32 s50, s50, s1
	s_sub_i32 s1, s50, s1
	s_cmp_lt_i32 s1, s55
	v_mov_b32_e32 v10, v8
	s_mov_b32 s63, 0
	s_cselect_b32 s64, s0, 0
	s_mul_hi_i32 s65, s1, s14
	s_mul_i32 s66, s1, s14
	v_mov_b32_e32 v9, v7
	s_branch .LBB30_17
.LBB30_16:                              ;   in Loop: Header=BB30_17 Depth=3
	s_add_i32 s63, s63, 1
	v_mov_b32_e32 v11, s49
	v_add_co_u32_e32 v9, vcc, s48, v9
	s_cmp_eq_u32 s63, s22
	v_addc_co_u32_e32 v10, vcc, v10, v11, vcc
	s_cbranch_scc1 .LBB30_7
.LBB30_17:                              ;   Parent Loop BB30_3 Depth=1
                                        ;     Parent Loop BB30_8 Depth=2
                                        ; =>    This Loop Header: Depth=3
                                        ;         Child Loop BB30_24 Depth 4
	s_mul_i32 s0, s18, s63
	v_subrev_u32_e32 v11, s0, v21
	v_sub_u32_e32 v13, 0, v11
	v_cmp_gt_i32_e64 s[0:1], 0, v11
	v_cmp_lt_i32_e32 vcc, -1, v11
	v_ashrrev_i32_e32 v12, 31, v11
	v_max_i32_e32 v11, v11, v13
	s_and_saveexec_b64 s[50:51], vcc
	s_cbranch_execnz .LBB30_20
; %bb.18:                               ;   in Loop: Header=BB30_17 Depth=3
	s_or_b64 exec, exec, s[50:51]
	v_mov_b32_e32 v13, 1
	s_and_saveexec_b64 s[50:51], s[0:1]
	s_cbranch_execnz .LBB30_21
.LBB30_19:                              ;   in Loop: Header=BB30_17 Depth=3
	s_or_b64 exec, exec, s[50:51]
	s_andn2_b64 vcc, exec, s[8:9]
	s_cbranch_vccz .LBB30_22
	s_branch .LBB30_16
.LBB30_20:                              ;   in Loop: Header=BB30_17 Depth=3
	v_mul_hi_u32 v13, v11, v17
	s_andn2_b64 s[0:1], s[0:1], exec
	v_mul_lo_u32 v13, v13, s60
	v_sub_u32_e32 v13, v11, v13
	v_subrev_u32_e32 v14, s60, v13
	v_cmp_le_u32_e32 vcc, s60, v13
	v_cndmask_b32_e32 v13, v13, v14, vcc
	v_subrev_u32_e32 v14, s60, v13
	v_cmp_le_u32_e32 vcc, s60, v13
	v_cndmask_b32_e32 v13, v13, v14, vcc
	v_xor_b32_e32 v13, v13, v12
	v_sub_u32_e32 v13, v13, v12
	v_cmp_ne_u32_e32 vcc, 0, v13
	s_and_b64 s[68:69], vcc, exec
	s_or_b64 s[0:1], s[0:1], s[68:69]
	s_or_b64 exec, exec, s[50:51]
	v_mov_b32_e32 v13, 1
	s_and_saveexec_b64 s[50:51], s[0:1]
	s_cbranch_execz .LBB30_19
.LBB30_21:                              ;   in Loop: Header=BB30_17 Depth=3
	v_mov_b32_e32 v13, 0
	s_or_b64 exec, exec, s[50:51]
	s_andn2_b64 vcc, exec, s[8:9]
	s_cbranch_vccnz .LBB30_16
.LBB30_22:                              ;   in Loop: Header=BB30_17 Depth=3
	v_mul_hi_u32 v14, v11, v17
	v_xor_b32_e32 v12, s13, v12
	s_mov_b32 s50, s11
	v_mul_lo_u32 v22, v14, s60
	v_add_u32_e32 v23, 1, v14
	v_sub_u32_e32 v11, v11, v22
	v_cmp_le_u32_e32 vcc, s60, v11
	v_subrev_u32_e32 v22, s60, v11
	v_cndmask_b32_e32 v14, v14, v23, vcc
	v_cndmask_b32_e32 v11, v11, v22, vcc
	v_add_u32_e32 v22, 1, v14
	v_cmp_le_u32_e32 vcc, s60, v11
	v_cndmask_b32_e32 v11, v14, v22, vcc
	v_xor_b32_e32 v11, v11, v12
	v_sub_u32_e32 v11, v11, v12
	v_cmp_gt_i32_e32 vcc, s14, v11
	v_ashrrev_i32_e32 v12, 31, v11
	v_cndmask_b32_e32 v13, 0, v13, vcc
	v_mov_b32_e32 v14, s65
	v_add_co_u32_e32 v11, vcc, s66, v11
	v_addc_co_u32_e32 v12, vcc, v14, v12, vcc
	v_lshlrev_b64 v[11:12], 2, v[11:12]
	v_mov_b32_e32 v14, s39
	v_add_co_u32_e32 v11, vcc, s38, v11
	v_addc_co_u32_e32 v12, vcc, v14, v12, vcc
	v_mul_lo_u32 v14, s23, v12
	v_mul_lo_u32 v22, s56, v11
	v_mad_u64_u32 v[11:12], s[0:1], s23, v11, v[5:6]
	v_and_b32_e32 v13, s64, v13
	v_and_b32_e32 v13, 1, v13
	v_cmp_eq_u32_e32 vcc, 1, v13
	v_add3_u32 v12, v22, v12, v14
	v_mov_b32_e32 v14, v10
	v_mov_b32_e32 v13, v9
	s_branch .LBB30_24
.LBB30_23:                              ;   in Loop: Header=BB30_24 Depth=4
	s_or_b64 exec, exec, s[0:1]
	v_add_co_u32_e64 v11, s[0:1], 4, v11
	v_addc_co_u32_e64 v12, s[0:1], 0, v12, s[0:1]
	s_add_i32 s50, s50, -1
	v_mov_b32_e32 v22, s45
	v_add_co_u32_e64 v13, s[0:1], s44, v13
	s_cmp_eq_u32 s50, 0
	v_addc_co_u32_e64 v14, s[0:1], v14, v22, s[0:1]
	s_cbranch_scc1 .LBB30_16
.LBB30_24:                              ;   Parent Loop BB30_3 Depth=1
                                        ;     Parent Loop BB30_8 Depth=2
                                        ;       Parent Loop BB30_17 Depth=3
                                        ; =>      This Inner Loop Header: Depth=4
	s_and_saveexec_b64 s[0:1], vcc
	s_cbranch_execz .LBB30_23
; %bb.25:                               ;   in Loop: Header=BB30_24 Depth=4
	global_load_dword v22, v[11:12], off
	global_load_dword v24, v[13:14], off
	s_waitcnt vmcnt(1)
	v_cvt_f64_f32_e32 v[22:23], v22
	s_waitcnt vmcnt(0)
	v_cvt_f64_f32_e32 v[24:25], v24
	v_fma_f64 v[3:4], v[22:23], v[24:25], v[3:4]
	s_branch .LBB30_23
.LBB30_26:                              ;   in Loop: Header=BB30_3 Depth=1
	v_mad_i64_i32 v[7:8], s[0:1], v18, s10, 0
	v_mul_lo_u32 v9, v20, s24
	v_mul_lo_u32 v10, v19, s25
	v_mad_u64_u32 v[5:6], s[0:1], v19, s24, 0
	v_lshlrev_b64 v[7:8], 2, v[7:8]
	v_lshlrev_b64 v[1:2], 2, v[1:2]
	v_add3_u32 v6, v6, v10, v9
	v_mov_b32_e32 v9, s54
	v_add_co_u32_e32 v7, vcc, s53, v7
	v_lshlrev_b64 v[5:6], 2, v[5:6]
	v_addc_co_u32_e32 v8, vcc, v9, v8, vcc
	v_add_co_u32_e32 v5, vcc, v7, v5
	v_addc_co_u32_e32 v6, vcc, v8, v6, vcc
	v_add_co_u32_e64 v1, s[0:1], v5, v1
	s_andn2_b64 vcc, exec, s[34:35]
	v_addc_co_u32_e64 v2, s[0:1], v6, v2, s[0:1]
	s_cbranch_vccnz .LBB30_2
; %bb.27:                               ;   in Loop: Header=BB30_3 Depth=1
	global_load_dword v5, v[1:2], off
	s_waitcnt vmcnt(0)
	v_cvt_f64_f32_e32 v[5:6], v5
	v_mul_f64 v[5:6], s[30:31], v[5:6]
	v_fma_f64 v[3:4], s[28:29], v[3:4], v[5:6]
	s_branch .LBB30_2
.LBB30_28:
	s_endpgm
	.section	.rodata,"a",@progbits
	.p2align	6, 0x0
	.amdhsa_kernel naive_conv_ab_packed_bwd_nhwc_float_double_float
		.amdhsa_group_segment_fixed_size 0
		.amdhsa_private_segment_fixed_size 0
		.amdhsa_kernarg_size 480
		.amdhsa_user_sgpr_count 6
		.amdhsa_user_sgpr_private_segment_buffer 1
		.amdhsa_user_sgpr_dispatch_ptr 0
		.amdhsa_user_sgpr_queue_ptr 0
		.amdhsa_user_sgpr_kernarg_segment_ptr 1
		.amdhsa_user_sgpr_dispatch_id 0
		.amdhsa_user_sgpr_flat_scratch_init 0
		.amdhsa_user_sgpr_private_segment_size 0
		.amdhsa_uses_dynamic_stack 0
		.amdhsa_system_sgpr_private_segment_wavefront_offset 0
		.amdhsa_system_sgpr_workgroup_id_x 1
		.amdhsa_system_sgpr_workgroup_id_y 0
		.amdhsa_system_sgpr_workgroup_id_z 0
		.amdhsa_system_sgpr_workgroup_info 0
		.amdhsa_system_vgpr_workitem_id 0
		.amdhsa_next_free_vgpr 26
		.amdhsa_next_free_sgpr 70
		.amdhsa_reserve_vcc 1
		.amdhsa_reserve_flat_scratch 0
		.amdhsa_float_round_mode_32 0
		.amdhsa_float_round_mode_16_64 0
		.amdhsa_float_denorm_mode_32 3
		.amdhsa_float_denorm_mode_16_64 3
		.amdhsa_dx10_clamp 1
		.amdhsa_ieee_mode 1
		.amdhsa_fp16_overflow 0
		.amdhsa_exception_fp_ieee_invalid_op 0
		.amdhsa_exception_fp_denorm_src 0
		.amdhsa_exception_fp_ieee_div_zero 0
		.amdhsa_exception_fp_ieee_overflow 0
		.amdhsa_exception_fp_ieee_underflow 0
		.amdhsa_exception_fp_ieee_inexact 0
		.amdhsa_exception_int_div_zero 0
	.end_amdhsa_kernel
	.text
.Lfunc_end30:
	.size	naive_conv_ab_packed_bwd_nhwc_float_double_float, .Lfunc_end30-naive_conv_ab_packed_bwd_nhwc_float_double_float
                                        ; -- End function
	.set naive_conv_ab_packed_bwd_nhwc_float_double_float.num_vgpr, 26
	.set naive_conv_ab_packed_bwd_nhwc_float_double_float.num_agpr, 0
	.set naive_conv_ab_packed_bwd_nhwc_float_double_float.numbered_sgpr, 70
	.set naive_conv_ab_packed_bwd_nhwc_float_double_float.num_named_barrier, 0
	.set naive_conv_ab_packed_bwd_nhwc_float_double_float.private_seg_size, 0
	.set naive_conv_ab_packed_bwd_nhwc_float_double_float.uses_vcc, 1
	.set naive_conv_ab_packed_bwd_nhwc_float_double_float.uses_flat_scratch, 0
	.set naive_conv_ab_packed_bwd_nhwc_float_double_float.has_dyn_sized_stack, 0
	.set naive_conv_ab_packed_bwd_nhwc_float_double_float.has_recursion, 0
	.set naive_conv_ab_packed_bwd_nhwc_float_double_float.has_indirect_call, 0
	.section	.AMDGPU.csdata,"",@progbits
; Kernel info:
; codeLenInByte = 1996
; TotalNumSgprs: 74
; NumVgprs: 26
; ScratchSize: 0
; MemoryBound: 0
; FloatMode: 240
; IeeeMode: 1
; LDSByteSize: 0 bytes/workgroup (compile time only)
; SGPRBlocks: 9
; VGPRBlocks: 6
; NumSGPRsForWavesPerEU: 74
; NumVGPRsForWavesPerEU: 26
; Occupancy: 9
; WaveLimiterHint : 0
; COMPUTE_PGM_RSRC2:SCRATCH_EN: 0
; COMPUTE_PGM_RSRC2:USER_SGPR: 6
; COMPUTE_PGM_RSRC2:TRAP_HANDLER: 0
; COMPUTE_PGM_RSRC2:TGID_X_EN: 1
; COMPUTE_PGM_RSRC2:TGID_Y_EN: 0
; COMPUTE_PGM_RSRC2:TGID_Z_EN: 0
; COMPUTE_PGM_RSRC2:TIDIG_COMP_CNT: 0
	.text
	.protected	naive_conv_ab_nonpacked_bwd_nhwc_float_double_float ; -- Begin function naive_conv_ab_nonpacked_bwd_nhwc_float_double_float
	.globl	naive_conv_ab_nonpacked_bwd_nhwc_float_double_float
	.p2align	8
	.type	naive_conv_ab_nonpacked_bwd_nhwc_float_double_float,@function
naive_conv_ab_nonpacked_bwd_nhwc_float_double_float: ; @naive_conv_ab_nonpacked_bwd_nhwc_float_double_float
; %bb.0:
	s_load_dwordx16 s[8:23], s[4:5], 0xa0
	s_abs_i32 s1, s6
	s_waitcnt lgkmcnt(0)
	s_abs_i32 s0, s8
	v_cvt_f32_u32_e32 v1, s0
	s_sub_i32 s2, 0, s0
	v_rcp_iflag_f32_e32 v1, v1
	v_mul_f32_e32 v1, 0x4f7ffffe, v1
	v_cvt_u32_f32_e32 v1, v1
	v_readfirstlane_b32 s3, v1
	s_mul_i32 s2, s2, s3
	s_mul_hi_u32 s2, s3, s2
	s_add_i32 s3, s3, s2
	s_mul_hi_u32 s2, s1, s3
	s_mul_i32 s3, s2, s0
	s_sub_i32 s1, s1, s3
	s_add_i32 s7, s2, 1
	s_sub_i32 s3, s1, s0
	s_cmp_ge_u32 s1, s0
	s_cselect_b32 s2, s7, s2
	s_cselect_b32 s1, s3, s1
	s_add_i32 s3, s2, 1
	s_cmp_ge_u32 s1, s0
	s_cselect_b32 s1, s3, s2
	s_abs_i32 s0, s10
	v_cvt_f32_u32_e32 v1, s0
	s_mul_i32 s10, s23, s12
	s_mul_i32 s23, s10, s9
	v_cmp_gt_i32_e32 vcc, s23, v0
	v_rcp_iflag_f32_e32 v1, v1
	v_mul_f32_e32 v1, 0x4f7ffffe, v1
	v_cvt_u32_f32_e32 v1, v1
	v_readfirstlane_b32 s2, v1
	s_and_saveexec_b64 s[24:25], vcc
	s_cbranch_execz .LBB31_28
; %bb.1:
	s_xor_b32 s3, s6, s8
	s_ashr_i32 s3, s3, 31
	s_sub_i32 s9, 0, s0
	s_xor_b32 s1, s1, s3
	s_mul_i32 s9, s9, s2
	s_sub_i32 s1, s1, s3
	s_mul_hi_u32 s9, s2, s9
	s_abs_i32 s7, s1
	s_add_i32 s2, s2, s9
	s_mul_hi_u32 s2, s7, s2
	s_ashr_i32 s3, s1, 31
	s_mul_i32 s1, s1, s8
	s_mul_i32 s2, s2, s0
	s_sub_i32 s8, s6, s1
	s_sub_i32 s1, s7, s2
	s_sub_i32 s2, s1, s0
	s_cmp_ge_u32 s1, s0
	s_cselect_b32 s1, s2, s1
	s_sub_i32 s2, s1, s0
	s_cmp_ge_u32 s1, s0
	s_load_dwordx16 s[36:51], s[4:5], 0x28
	s_load_dwordx2 s[52:53], s[4:5], 0x98
	s_cselect_b32 s0, s2, s1
	s_xor_b32 s0, s0, s3
	s_sub_i32 s54, s0, s3
	s_load_dwordx8 s[24:31], s[4:5], 0x0
	s_ashr_i32 s55, s54, 31
	s_waitcnt lgkmcnt(0)
	s_mul_i32 s0, s44, s55
	s_mul_hi_u32 s1, s44, s54
	s_ashr_i32 s2, s8, 31
	s_add_i32 s0, s1, s0
	s_mul_i32 s1, s45, s54
	s_mul_i32 s2, s42, s2
	s_mul_hi_u32 s3, s42, s8
	s_add_i32 s1, s0, s1
	s_mul_i32 s0, s44, s54
	s_add_i32 s2, s3, s2
	s_mul_i32 s3, s43, s8
	s_add_i32 s3, s2, s3
	s_lshl_b64 s[0:1], s[0:1], 2
	s_mul_i32 s2, s42, s8
	s_add_u32 s6, s24, s0
	s_addc_u32 s7, s25, s1
	s_lshl_b64 s[0:1], s[2:3], 2
	s_add_u32 s33, s6, s0
	s_addc_u32 s62, s7, s1
	s_cmp_lt_i32 s21, 1
	s_cselect_b64 s[6:7], -1, 0
	s_add_i32 s19, s8, s19
	s_cmp_gt_i32 s22, 0
	s_cselect_b64 s[8:9], -1, 0
	s_cmp_gt_i32 s11, 0
	s_cselect_b64 s[24:25], -1, 0
	s_abs_i32 s63, s15
	v_cvt_f32_u32_e32 v1, s63
	s_mul_i32 s42, s52, s55
	s_mul_hi_u32 s43, s52, s54
	s_abs_i32 s67, s10
	v_rcp_iflag_f32_e32 v1, v1
	s_abs_i32 s69, s12
	s_ashr_i32 s70, s16, 31
	s_abs_i32 s16, s16
	v_mul_f32_e32 v1, 0x4f7ffffe, v1
	v_cvt_u32_f32_e32 v1, v1
	s_add_i32 s43, s43, s42
	s_mul_i32 s42, s52, s54
	v_cvt_f32_u32_e32 v3, s69
	v_readfirstlane_b32 s52, v1
	v_cvt_f32_u32_e32 v1, s67
	v_cvt_f32_u32_e32 v5, s16
	v_rcp_iflag_f32_e32 v3, v3
	v_cmp_neq_f64_e64 s[0:1], s[28:29], 1.0
	v_rcp_iflag_f32_e32 v1, v1
	v_rcp_iflag_f32_e32 v5, v5
	v_cmp_neq_f64_e64 s[2:3], s[30:31], 0
	v_mul_f32_e32 v3, 0x4f7ffffe, v3
	v_mul_f32_e32 v1, 0x4f7ffffe, v1
	;; [unrolled: 1-line block ×3, first 2 shown]
	v_cvt_u32_f32_e32 v1, v1
	v_cvt_u32_f32_e32 v3, v3
	v_cvt_u32_f32_e32 v5, v5
	s_mul_i32 s44, s53, s54
	s_add_i32 s43, s43, s44
	s_sub_i32 s44, 0, s63
	s_mul_i32 s44, s44, s52
	s_sub_i32 s71, 0, s67
	s_sub_i32 s74, 0, s69
	;; [unrolled: 1-line block ×3, first 2 shown]
	s_mul_hi_u32 s44, s52, s44
	v_mul_lo_u32 v2, s71, v1
	v_mul_lo_u32 v4, s74, v3
	;; [unrolled: 1-line block ×3, first 2 shown]
	s_or_b64 s[34:35], s[0:1], s[2:3]
	s_load_dwordx4 s[0:3], s[4:5], 0x88
	s_load_dword s45, s[4:5], 0xec
	s_add_i32 s64, s52, s44
	s_load_dwordx8 s[52:59], s[4:5], 0x68
	s_load_dwordx2 s[72:73], s[4:5], 0x20
	v_mul_hi_u32 v2, v1, v2
	v_mul_hi_u32 v4, v3, v4
	;; [unrolled: 1-line block ×3, first 2 shown]
	s_waitcnt lgkmcnt(0)
	s_and_b32 s65, s45, 0xffff
	s_lshl_b64 s[60:61], s[42:43], 2
	s_ashr_i32 s66, s10, 31
	s_ashr_i32 s68, s12, 31
	;; [unrolled: 1-line block ×3, first 2 shown]
	s_lshl_b64 s[42:43], s[46:47], 2
	s_lshl_b64 s[4:5], s[54:55], 2
	;; [unrolled: 1-line block ×5, first 2 shown]
	s_add_u32 s50, s72, s60
	s_addc_u32 s51, s73, s61
	s_lshl_b64 s[52:53], s[58:59], 2
	s_lshl_b64 s[54:55], s[56:57], 2
	s_lshl_b64 s[2:3], s[2:3], 2
	s_lshl_b64 s[56:57], s[0:1], 2
	v_add_u32_e32 v15, v1, v2
	v_add_u32_e32 v16, v3, v4
	;; [unrolled: 1-line block ×3, first 2 shown]
	s_mov_b64 s[58:59], 0
	s_branch .LBB31_3
.LBB31_2:                               ;   in Loop: Header=BB31_3 Depth=1
	v_cvt_f32_f64_e32 v1, v[1:2]
	v_add_u32_e32 v0, s65, v0
	v_cmp_le_i32_e32 vcc, s23, v0
	s_or_b64 s[58:59], vcc, s[58:59]
	global_store_dword v[3:4], v1, off
	s_andn2_b64 exec, exec, s[58:59]
	s_cbranch_execz .LBB31_28
.LBB31_3:                               ; =>This Loop Header: Depth=1
                                        ;     Child Loop BB31_8 Depth 2
                                        ;       Child Loop BB31_17 Depth 3
                                        ;         Child Loop BB31_24 Depth 4
	v_sub_u32_e32 v1, 0, v0
	v_max_i32_e32 v1, v0, v1
	v_mul_hi_u32 v2, v1, v15
	v_ashrrev_i32_e32 v4, 31, v0
	v_xor_b32_e32 v4, s66, v4
	s_mov_b64 s[0:1], -1
	v_mul_lo_u32 v3, v2, s67
	v_add_u32_e32 v5, 1, v2
	v_sub_u32_e32 v1, v1, v3
	v_cmp_le_u32_e32 vcc, s67, v1
	v_subrev_u32_e32 v3, s67, v1
	v_cndmask_b32_e32 v2, v2, v5, vcc
	v_cndmask_b32_e32 v1, v1, v3, vcc
	v_add_u32_e32 v3, 1, v2
	v_cmp_le_u32_e32 vcc, s67, v1
	v_cndmask_b32_e32 v1, v2, v3, vcc
	v_xor_b32_e32 v1, v1, v4
	v_sub_u32_e32 v18, v1, v4
	v_mul_lo_u32 v1, v18, s10
	v_sub_u32_e32 v3, v0, v1
	v_sub_u32_e32 v1, 0, v3
	v_max_i32_e32 v1, v3, v1
	v_mul_hi_u32 v2, v1, v16
	v_ashrrev_i32_e32 v4, 31, v3
	v_xor_b32_e32 v6, s68, v4
	v_mul_lo_u32 v5, v2, s69
	v_add_u32_e32 v7, 1, v2
	v_sub_u32_e32 v1, v1, v5
	v_cmp_le_u32_e32 vcc, s69, v1
	v_subrev_u32_e32 v5, s69, v1
	v_cndmask_b32_e32 v2, v2, v7, vcc
	v_cndmask_b32_e32 v1, v1, v5, vcc
	v_add_u32_e32 v5, 1, v2
	v_cmp_le_u32_e32 vcc, s69, v1
	v_cndmask_b32_e32 v1, v2, v5, vcc
	v_xor_b32_e32 v1, v1, v6
	v_sub_u32_e32 v20, v1, v6
	v_mul_lo_u32 v5, v20, s12
	s_andn2_b64 vcc, exec, s[6:7]
	v_ashrrev_i32_e32 v22, 31, v20
	v_sub_u32_e32 v19, v3, v5
	v_ashrrev_i32_e32 v21, 31, v19
	s_cbranch_vccnz .LBB31_5
; %bb.4:                                ;   in Loop: Header=BB31_3 Depth=1
	s_mov_b64 s[0:1], 0
.LBB31_5:                               ;   in Loop: Header=BB31_3 Depth=1
	v_mov_b32_e32 v1, 0
	v_mov_b32_e32 v2, 0
	s_andn2_b64 vcc, exec, s[0:1]
	s_cbranch_vccnz .LBB31_26
; %bb.6:                                ;   in Loop: Header=BB31_3 Depth=1
	v_mul_lo_u32 v7, s5, v20
	v_mul_lo_u32 v8, s4, v22
	v_mad_u64_u32 v[1:2], s[0:1], s4, v20, 0
	v_ashrrev_i32_e32 v6, 31, v5
	v_sub_co_u32_e32 v3, vcc, v3, v5
	v_subb_co_u32_e32 v4, vcc, v4, v6, vcc
	v_add3_u32 v2, v2, v8, v7
	v_mad_u64_u32 v[1:2], s[0:1], s42, v3, v[1:2]
	v_mul_lo_u32 v4, s42, v4
	v_mul_lo_u32 v3, s43, v3
	;; [unrolled: 1-line block ×3, first 2 shown]
	v_mov_b32_e32 v7, s27
	v_add_co_u32_e32 v5, vcc, s26, v1
	v_add3_u32 v6, v3, v2, v4
	v_mov_b32_e32 v2, s50
	v_mov_b32_e32 v3, s51
	v_mad_u64_u32 v[3:4], s[0:1], s52, v20, v[2:3]
	v_mul_lo_u32 v2, s53, v20
	v_add_u32_e32 v23, s20, v18
	v_addc_co_u32_e32 v6, vcc, v7, v6, vcc
	v_add3_u32 v4, v2, v4, v8
	v_mov_b32_e32 v1, 0
	v_mov_b32_e32 v2, 0
	s_mov_b32 s71, 0
	s_branch .LBB31_8
.LBB31_7:                               ;   in Loop: Header=BB31_8 Depth=2
	s_add_i32 s71, s71, 1
	v_mov_b32_e32 v7, s45
	v_add_co_u32_e32 v5, vcc, s44, v5
	s_cmp_eq_u32 s71, s21
	v_addc_co_u32_e32 v6, vcc, v6, v7, vcc
	s_cbranch_scc1 .LBB31_26
.LBB31_8:                               ;   Parent Loop BB31_3 Depth=1
                                        ; =>  This Loop Header: Depth=2
                                        ;       Child Loop BB31_17 Depth 3
                                        ;         Child Loop BB31_24 Depth 4
	s_mul_i32 s0, s17, s71
	s_sub_i32 s76, s19, s0
	s_cmp_gt_i32 s76, -1
	s_cbranch_scc0 .LBB31_10
; %bb.9:                                ;   in Loop: Header=BB31_8 Depth=2
	s_abs_i32 s0, s76
	s_mul_hi_u32 s73, s0, s64
	s_mul_i32 s1, s73, s63
	s_sub_i32 s74, s0, s1
	s_ashr_i32 s72, s76, 31
	s_sub_i32 s75, s74, s63
	s_cmp_ge_u32 s74, s63
	s_cselect_b32 s0, s75, s74
	s_sub_i32 s1, s0, s63
	s_cmp_ge_u32 s0, s63
	s_cselect_b32 s0, s1, s0
	s_xor_b32 s0, s0, s72
	s_sub_i32 s0, s0, s72
	s_cmp_lg_u32 s0, 0
	s_cselect_b64 s[0:1], -1, 0
	s_cbranch_execz .LBB31_11
	s_branch .LBB31_12
.LBB31_10:                              ;   in Loop: Header=BB31_8 Depth=2
	s_mov_b64 s[0:1], 0
                                        ; implicit-def: $sgpr72
                                        ; implicit-def: $sgpr73
                                        ; implicit-def: $sgpr74
                                        ; implicit-def: $sgpr75
.LBB31_11:                              ;   in Loop: Header=BB31_8 Depth=2
	s_abs_i32 s0, s76
	s_mul_hi_u32 s73, s0, s64
	s_mul_i32 s1, s73, s63
	s_sub_i32 s74, s0, s1
	s_ashr_i32 s72, s76, 31
	s_sub_i32 s75, s74, s63
	s_mov_b64 s[0:1], -1
.LBB31_12:                              ;   in Loop: Header=BB31_8 Depth=2
	s_andn2_b64 vcc, exec, s[0:1]
	s_mov_b32 s0, 1
	s_cbranch_vccz .LBB31_14
; %bb.13:                               ;   in Loop: Header=BB31_8 Depth=2
	s_andn2_b64 vcc, exec, s[8:9]
	s_cbranch_vccz .LBB31_15
	s_branch .LBB31_7
.LBB31_14:                              ;   in Loop: Header=BB31_8 Depth=2
	s_mov_b32 s0, 0
	s_andn2_b64 vcc, exec, s[8:9]
	s_cbranch_vccnz .LBB31_7
.LBB31_15:                              ;   in Loop: Header=BB31_8 Depth=2
	s_xor_b32 s1, s72, s15
	s_add_i32 s60, s73, 1
	s_cmp_ge_u32 s74, s63
	s_cselect_b32 s60, s60, s73
	s_cselect_b32 s61, s75, s74
	s_add_i32 s72, s60, 1
	s_cmp_ge_u32 s61, s63
	s_cselect_b32 s60, s72, s60
	s_xor_b32 s60, s60, s1
	s_sub_i32 s60, s60, s1
	s_cmp_lt_i32 s60, s13
	v_mov_b32_e32 v7, s60
	s_cselect_b32 s73, s0, 0
	v_mad_u64_u32 v[7:8], s[0:1], s2, v7, v[3:4]
	s_ashr_i32 s61, s60, 31
	s_mul_i32 s0, s2, s61
	s_mul_i32 s1, s3, s60
	s_add_i32 s0, s0, s1
	v_mov_b32_e32 v10, v6
	s_mov_b32 s72, 0
	v_add_u32_e32 v8, s0, v8
	v_mov_b32_e32 v9, v5
	s_branch .LBB31_17
.LBB31_16:                              ;   in Loop: Header=BB31_17 Depth=3
	s_add_i32 s72, s72, 1
	v_mov_b32_e32 v11, s47
	v_add_co_u32_e32 v9, vcc, s46, v9
	s_cmp_eq_u32 s72, s22
	v_addc_co_u32_e32 v10, vcc, v10, v11, vcc
	s_cbranch_scc1 .LBB31_7
.LBB31_17:                              ;   Parent Loop BB31_3 Depth=1
                                        ;     Parent Loop BB31_8 Depth=2
                                        ; =>    This Loop Header: Depth=3
                                        ;         Child Loop BB31_24 Depth 4
	s_mul_i32 s0, s18, s72
	v_subrev_u32_e32 v11, s0, v23
	v_sub_u32_e32 v13, 0, v11
	v_cmp_gt_i32_e64 s[0:1], 0, v11
	v_cmp_lt_i32_e32 vcc, -1, v11
	v_ashrrev_i32_e32 v12, 31, v11
	v_max_i32_e32 v11, v11, v13
	s_and_saveexec_b64 s[60:61], vcc
	s_cbranch_execnz .LBB31_20
; %bb.18:                               ;   in Loop: Header=BB31_17 Depth=3
	s_or_b64 exec, exec, s[60:61]
	v_mov_b32_e32 v13, 1
	s_and_saveexec_b64 s[60:61], s[0:1]
	s_cbranch_execnz .LBB31_21
.LBB31_19:                              ;   in Loop: Header=BB31_17 Depth=3
	s_or_b64 exec, exec, s[60:61]
	s_andn2_b64 vcc, exec, s[24:25]
	s_cbranch_vccz .LBB31_22
	s_branch .LBB31_16
.LBB31_20:                              ;   in Loop: Header=BB31_17 Depth=3
	v_mul_hi_u32 v13, v11, v17
	s_andn2_b64 s[0:1], s[0:1], exec
	v_mul_lo_u32 v13, v13, s16
	v_sub_u32_e32 v13, v11, v13
	v_subrev_u32_e32 v14, s16, v13
	v_cmp_le_u32_e32 vcc, s16, v13
	v_cndmask_b32_e32 v13, v13, v14, vcc
	v_subrev_u32_e32 v14, s16, v13
	v_cmp_le_u32_e32 vcc, s16, v13
	v_cndmask_b32_e32 v13, v13, v14, vcc
	v_xor_b32_e32 v13, v13, v12
	v_sub_u32_e32 v13, v13, v12
	v_cmp_ne_u32_e32 vcc, 0, v13
	s_and_b64 s[74:75], vcc, exec
	s_or_b64 s[0:1], s[0:1], s[74:75]
	s_or_b64 exec, exec, s[60:61]
	v_mov_b32_e32 v13, 1
	s_and_saveexec_b64 s[60:61], s[0:1]
	s_cbranch_execz .LBB31_19
.LBB31_21:                              ;   in Loop: Header=BB31_17 Depth=3
	v_mov_b32_e32 v13, 0
	s_or_b64 exec, exec, s[60:61]
	s_andn2_b64 vcc, exec, s[24:25]
	s_cbranch_vccnz .LBB31_16
.LBB31_22:                              ;   in Loop: Header=BB31_17 Depth=3
	v_mul_hi_u32 v14, v11, v17
	v_xor_b32_e32 v12, s70, v12
	s_mov_b32 s60, s11
	v_mul_lo_u32 v24, v14, s16
	v_add_u32_e32 v25, 1, v14
	v_sub_u32_e32 v11, v11, v24
	v_cmp_le_u32_e32 vcc, s16, v11
	v_subrev_u32_e32 v24, s16, v11
	v_cndmask_b32_e32 v14, v14, v25, vcc
	v_cndmask_b32_e32 v11, v11, v24, vcc
	v_add_u32_e32 v24, 1, v14
	v_cmp_le_u32_e32 vcc, s16, v11
	v_cndmask_b32_e32 v11, v14, v24, vcc
	v_xor_b32_e32 v11, v11, v12
	v_sub_u32_e32 v11, v11, v12
	v_ashrrev_i32_e32 v12, 31, v11
	v_cmp_gt_i32_e32 vcc, s14, v11
	v_mul_lo_u32 v14, s56, v12
	v_mul_lo_u32 v24, s57, v11
	v_mad_u64_u32 v[11:12], s[0:1], s56, v11, v[7:8]
	v_cndmask_b32_e32 v13, 0, v13, vcc
	v_and_b32_e32 v13, s73, v13
	v_and_b32_e32 v13, 1, v13
	v_cmp_eq_u32_e32 vcc, 1, v13
	v_add3_u32 v12, v24, v12, v14
	v_mov_b32_e32 v14, v10
	v_mov_b32_e32 v13, v9
	s_branch .LBB31_24
.LBB31_23:                              ;   in Loop: Header=BB31_24 Depth=4
	s_or_b64 exec, exec, s[0:1]
	v_mov_b32_e32 v24, s49
	v_add_co_u32_e64 v13, s[0:1], s48, v13
	v_addc_co_u32_e64 v14, s[0:1], v14, v24, s[0:1]
	s_add_i32 s60, s60, -1
	v_mov_b32_e32 v24, s55
	v_add_co_u32_e64 v11, s[0:1], s54, v11
	s_cmp_eq_u32 s60, 0
	v_addc_co_u32_e64 v12, s[0:1], v12, v24, s[0:1]
	s_cbranch_scc1 .LBB31_16
.LBB31_24:                              ;   Parent Loop BB31_3 Depth=1
                                        ;     Parent Loop BB31_8 Depth=2
                                        ;       Parent Loop BB31_17 Depth=3
                                        ; =>      This Inner Loop Header: Depth=4
	s_and_saveexec_b64 s[0:1], vcc
	s_cbranch_execz .LBB31_23
; %bb.25:                               ;   in Loop: Header=BB31_24 Depth=4
	global_load_dword v24, v[11:12], off
	global_load_dword v26, v[13:14], off
	s_waitcnt vmcnt(1)
	v_cvt_f64_f32_e32 v[24:25], v24
	s_waitcnt vmcnt(0)
	v_cvt_f64_f32_e32 v[26:27], v26
	v_fma_f64 v[1:2], v[24:25], v[26:27], v[1:2]
	s_branch .LBB31_23
.LBB31_26:                              ;   in Loop: Header=BB31_3 Depth=1
	v_ashrrev_i32_e32 v3, 31, v18
	v_mul_lo_u32 v9, s41, v18
	v_mul_lo_u32 v10, s40, v3
	v_mad_u64_u32 v[3:4], s[0:1], s40, v18, 0
	v_mul_lo_u32 v11, v22, s38
	v_mul_lo_u32 v12, v20, s39
	v_mad_u64_u32 v[5:6], s[0:1], v20, s38, 0
	v_add3_u32 v4, v4, v10, v9
	v_lshlrev_b64 v[3:4], 2, v[3:4]
	v_mul_lo_u32 v13, v21, s36
	v_mul_lo_u32 v14, v19, s37
	v_mad_u64_u32 v[7:8], s[0:1], v19, s36, 0
	v_add3_u32 v6, v6, v12, v11
	v_mov_b32_e32 v9, s62
	v_add_co_u32_e32 v10, vcc, s33, v3
	v_addc_co_u32_e32 v9, vcc, v9, v4, vcc
	v_lshlrev_b64 v[3:4], 2, v[5:6]
	v_add3_u32 v8, v8, v14, v13
	v_add_co_u32_e32 v5, vcc, v10, v3
	v_addc_co_u32_e32 v6, vcc, v9, v4, vcc
	v_lshlrev_b64 v[3:4], 2, v[7:8]
	s_andn2_b64 vcc, exec, s[34:35]
	v_add_co_u32_e64 v3, s[0:1], v5, v3
	v_addc_co_u32_e64 v4, s[0:1], v6, v4, s[0:1]
	s_cbranch_vccnz .LBB31_2
; %bb.27:                               ;   in Loop: Header=BB31_3 Depth=1
	global_load_dword v5, v[3:4], off
	s_waitcnt vmcnt(0)
	v_cvt_f64_f32_e32 v[5:6], v5
	v_mul_f64 v[5:6], s[30:31], v[5:6]
	v_fma_f64 v[1:2], s[28:29], v[1:2], v[5:6]
	s_branch .LBB31_2
.LBB31_28:
	s_endpgm
	.section	.rodata,"a",@progbits
	.p2align	6, 0x0
	.amdhsa_kernel naive_conv_ab_nonpacked_bwd_nhwc_float_double_float
		.amdhsa_group_segment_fixed_size 0
		.amdhsa_private_segment_fixed_size 0
		.amdhsa_kernarg_size 480
		.amdhsa_user_sgpr_count 6
		.amdhsa_user_sgpr_private_segment_buffer 1
		.amdhsa_user_sgpr_dispatch_ptr 0
		.amdhsa_user_sgpr_queue_ptr 0
		.amdhsa_user_sgpr_kernarg_segment_ptr 1
		.amdhsa_user_sgpr_dispatch_id 0
		.amdhsa_user_sgpr_flat_scratch_init 0
		.amdhsa_user_sgpr_private_segment_size 0
		.amdhsa_uses_dynamic_stack 0
		.amdhsa_system_sgpr_private_segment_wavefront_offset 0
		.amdhsa_system_sgpr_workgroup_id_x 1
		.amdhsa_system_sgpr_workgroup_id_y 0
		.amdhsa_system_sgpr_workgroup_id_z 0
		.amdhsa_system_sgpr_workgroup_info 0
		.amdhsa_system_vgpr_workitem_id 0
		.amdhsa_next_free_vgpr 28
		.amdhsa_next_free_sgpr 77
		.amdhsa_reserve_vcc 1
		.amdhsa_reserve_flat_scratch 0
		.amdhsa_float_round_mode_32 0
		.amdhsa_float_round_mode_16_64 0
		.amdhsa_float_denorm_mode_32 3
		.amdhsa_float_denorm_mode_16_64 3
		.amdhsa_dx10_clamp 1
		.amdhsa_ieee_mode 1
		.amdhsa_fp16_overflow 0
		.amdhsa_exception_fp_ieee_invalid_op 0
		.amdhsa_exception_fp_denorm_src 0
		.amdhsa_exception_fp_ieee_div_zero 0
		.amdhsa_exception_fp_ieee_overflow 0
		.amdhsa_exception_fp_ieee_underflow 0
		.amdhsa_exception_fp_ieee_inexact 0
		.amdhsa_exception_int_div_zero 0
	.end_amdhsa_kernel
	.text
.Lfunc_end31:
	.size	naive_conv_ab_nonpacked_bwd_nhwc_float_double_float, .Lfunc_end31-naive_conv_ab_nonpacked_bwd_nhwc_float_double_float
                                        ; -- End function
	.set naive_conv_ab_nonpacked_bwd_nhwc_float_double_float.num_vgpr, 28
	.set naive_conv_ab_nonpacked_bwd_nhwc_float_double_float.num_agpr, 0
	.set naive_conv_ab_nonpacked_bwd_nhwc_float_double_float.numbered_sgpr, 77
	.set naive_conv_ab_nonpacked_bwd_nhwc_float_double_float.num_named_barrier, 0
	.set naive_conv_ab_nonpacked_bwd_nhwc_float_double_float.private_seg_size, 0
	.set naive_conv_ab_nonpacked_bwd_nhwc_float_double_float.uses_vcc, 1
	.set naive_conv_ab_nonpacked_bwd_nhwc_float_double_float.uses_flat_scratch, 0
	.set naive_conv_ab_nonpacked_bwd_nhwc_float_double_float.has_dyn_sized_stack, 0
	.set naive_conv_ab_nonpacked_bwd_nhwc_float_double_float.has_recursion, 0
	.set naive_conv_ab_nonpacked_bwd_nhwc_float_double_float.has_indirect_call, 0
	.section	.AMDGPU.csdata,"",@progbits
; Kernel info:
; codeLenInByte = 2044
; TotalNumSgprs: 81
; NumVgprs: 28
; ScratchSize: 0
; MemoryBound: 0
; FloatMode: 240
; IeeeMode: 1
; LDSByteSize: 0 bytes/workgroup (compile time only)
; SGPRBlocks: 10
; VGPRBlocks: 6
; NumSGPRsForWavesPerEU: 81
; NumVGPRsForWavesPerEU: 28
; Occupancy: 9
; WaveLimiterHint : 0
; COMPUTE_PGM_RSRC2:SCRATCH_EN: 0
; COMPUTE_PGM_RSRC2:USER_SGPR: 6
; COMPUTE_PGM_RSRC2:TRAP_HANDLER: 0
; COMPUTE_PGM_RSRC2:TGID_X_EN: 1
; COMPUTE_PGM_RSRC2:TGID_Y_EN: 0
; COMPUTE_PGM_RSRC2:TGID_Z_EN: 0
; COMPUTE_PGM_RSRC2:TIDIG_COMP_CNT: 0
	.text
	.protected	naive_conv_ab_packed_bwd_nhwc_half_double_half ; -- Begin function naive_conv_ab_packed_bwd_nhwc_half_double_half
	.globl	naive_conv_ab_packed_bwd_nhwc_half_double_half
	.p2align	8
	.type	naive_conv_ab_packed_bwd_nhwc_half_double_half,@function
naive_conv_ab_packed_bwd_nhwc_half_double_half: ; @naive_conv_ab_packed_bwd_nhwc_half_double_half
; %bb.0:
	s_load_dwordx16 s[8:23], s[4:5], 0xa0
	s_abs_i32 s1, s6
	s_waitcnt lgkmcnt(0)
	s_abs_i32 s0, s8
	v_cvt_f32_u32_e32 v1, s0
	s_sub_i32 s2, 0, s0
	v_rcp_iflag_f32_e32 v1, v1
	v_mul_f32_e32 v1, 0x4f7ffffe, v1
	v_cvt_u32_f32_e32 v1, v1
	v_readfirstlane_b32 s3, v1
	s_mul_i32 s2, s2, s3
	s_mul_hi_u32 s2, s3, s2
	s_add_i32 s3, s3, s2
	s_mul_hi_u32 s2, s1, s3
	s_mul_i32 s3, s2, s0
	s_sub_i32 s1, s1, s3
	s_add_i32 s7, s2, 1
	s_sub_i32 s3, s1, s0
	s_cmp_ge_u32 s1, s0
	s_cselect_b32 s2, s7, s2
	s_cselect_b32 s1, s3, s1
	s_add_i32 s3, s2, 1
	s_cmp_ge_u32 s1, s0
	s_cselect_b32 s1, s3, s2
	s_abs_i32 s0, s10
	v_cvt_f32_u32_e32 v1, s0
	s_mul_i32 s10, s23, s12
	s_mul_i32 s33, s10, s9
	v_cmp_gt_i32_e32 vcc, s33, v0
	v_rcp_iflag_f32_e32 v1, v1
	v_mul_f32_e32 v1, 0x4f7ffffe, v1
	v_cvt_u32_f32_e32 v1, v1
	v_readfirstlane_b32 s2, v1
	s_and_saveexec_b64 s[24:25], vcc
	s_cbranch_execz .LBB32_30
; %bb.1:
	s_xor_b32 s3, s6, s8
	s_ashr_i32 s3, s3, 31
	s_sub_i32 s34, 0, s0
	s_xor_b32 s1, s1, s3
	s_mul_i32 s34, s34, s2
	s_sub_i32 s1, s1, s3
	s_mul_hi_u32 s34, s2, s34
	s_abs_i32 s7, s1
	s_add_i32 s2, s2, s34
	s_mul_hi_u32 s2, s7, s2
	s_ashr_i32 s3, s1, 31
	s_mul_i32 s1, s1, s8
	s_mul_i32 s2, s2, s0
	s_sub_i32 s6, s6, s1
	s_sub_i32 s1, s7, s2
	;; [unrolled: 1-line block ×3, first 2 shown]
	s_cmp_ge_u32 s1, s0
	s_cselect_b32 s1, s2, s1
	s_sub_i32 s2, s1, s0
	s_cmp_ge_u32 s1, s0
	s_cselect_b32 s0, s2, s1
	s_xor_b32 s0, s0, s3
	s_sub_i32 s38, s0, s3
	s_ashr_i32 s39, s38, 31
	s_mul_i32 s1, s38, s8
	s_ashr_i32 s52, s10, 31
	s_ashr_i32 s2, s6, 31
	s_mul_hi_i32 s0, s38, s8
	s_add_u32 s3, s1, s6
	s_load_dwordx8 s[24:31], s[4:5], 0x0
	s_addc_u32 s0, s0, s2
	s_mul_hi_i32 s1, s10, s9
	s_mul_i32 s0, s33, s0
	s_mul_hi_u32 s2, s33, s3
	s_add_i32 s0, s2, s0
	s_mul_i32 s1, s1, s3
	s_add_i32 s1, s0, s1
	s_mul_i32 s0, s33, s3
	s_lshl_b64 s[0:1], s[0:1], 1
	s_mul_i32 s23, s23, s11
	s_waitcnt lgkmcnt(0)
	s_add_u32 s53, s24, s0
	s_addc_u32 s54, s25, s1
	s_ashr_i32 s56, s23, 31
	s_cmp_lt_i32 s21, 1
	s_cselect_b64 s[2:3], -1, 0
	s_add_i32 s19, s6, s19
	s_cmp_gt_i32 s22, 0
	s_cselect_b64 s[6:7], -1, 0
	s_cmp_gt_i32 s11, 0
	s_cselect_b64 s[8:9], -1, 0
	s_abs_i32 s57, s10
	v_cvt_f32_u32_e32 v1, s57
	v_cmp_neq_f64_e64 s[34:35], s[28:29], 1.0
	v_cmp_neq_f64_e64 s[36:37], s[30:31], 0
	s_abs_i32 s58, s12
	v_rcp_iflag_f32_e32 v1, v1
	v_cvt_f32_u32_e32 v2, s58
	s_abs_i32 s60, s16
	s_abs_i32 s61, s15
	v_mul_f32_e32 v1, 0x4f7ffffe, v1
	v_rcp_iflag_f32_e32 v2, v2
	v_cvt_u32_f32_e32 v1, v1
	s_or_b64 s[34:35], s[34:35], s[36:37]
	s_load_dwordx2 s[36:37], s[4:5], 0x20
	s_nop 0
	s_load_dword s4, s[4:5], 0xec
	s_sub_i32 s5, 0, s57
	v_mul_f32_e32 v2, 0x4f7ffffe, v2
	v_mul_lo_u32 v3, s5, v1
	v_cvt_u32_f32_e32 v2, v2
	s_waitcnt lgkmcnt(0)
	s_and_b32 s59, s4, 0xffff
	s_sub_i32 s4, 0, s58
	v_mul_hi_u32 v3, v1, v3
	v_mul_lo_u32 v4, s4, v2
	v_cvt_f32_u32_e32 v5, s60
	v_cvt_f32_u32_e32 v6, s61
	v_add_u32_e32 v15, v1, v3
	v_mul_hi_u32 v4, v2, v4
	v_rcp_iflag_f32_e32 v5, v5
	v_rcp_iflag_f32_e32 v1, v6
	s_sub_i32 s4, 0, s60
	v_add_u32_e32 v16, v2, v4
	v_mul_f32_e32 v2, 0x4f7ffffe, v5
	v_mul_f32_e32 v1, 0x4f7ffffe, v1
	v_cvt_u32_f32_e32 v2, v2
	v_cvt_u32_f32_e32 v1, v1
	s_mov_b32 s55, s13
	s_ashr_i32 s1, s11, 31
	v_mul_lo_u32 v3, s4, v2
	s_sub_i32 s4, 0, s61
	v_readfirstlane_b32 s5, v1
	s_mul_i32 s4, s4, s5
	s_mul_hi_u32 s4, s5, s4
	s_add_i32 s62, s5, s4
	s_mul_i32 s5, s14, s13
	s_mul_hi_i32 s4, s14, s13
	s_mul_i32 s13, s5, s39
	s_mul_hi_u32 s39, s5, s38
	s_mov_b32 s0, s11
	s_ashr_i32 s40, s21, 31
	s_add_i32 s13, s39, s13
	s_mul_i32 s4, s4, s38
	s_mul_i32 s42, s22, s12
	s_add_i32 s39, s13, s4
	s_mul_i32 s38, s5, s38
	s_lshl_b64 s[4:5], s[0:1], 1
	s_mul_i32 s0, s42, s40
	s_mul_hi_u32 s13, s42, s21
	s_mul_hi_i32 s43, s22, s12
	v_mul_hi_u32 v1, v2, v3
	s_add_i32 s0, s13, s0
	s_mul_i32 s13, s43, s21
	s_mul_i32 s44, s42, s21
	s_add_i32 s45, s0, s13
	s_mul_i32 s0, s44, s1
	s_mul_hi_u32 s1, s44, s11
	s_add_i32 s0, s1, s0
	s_mul_i32 s1, s45, s11
	s_ashr_i32 s25, s12, 31
	s_mov_b32 s24, s12
	s_add_i32 s1, s0, s1
	s_mul_i32 s0, s44, s11
	s_ashr_i32 s15, s15, 31
	v_add_u32_e32 v17, v2, v1
	s_lshl_b64 s[38:39], s[38:39], 1
	s_lshl_b64 s[40:41], s[0:1], 1
	;; [unrolled: 1-line block ×4, first 2 shown]
	v_mov_b32_e32 v18, 0x7c00
	v_mov_b32_e32 v19, 0x7e00
	s_ashr_i32 s13, s16, 31
	s_movk_i32 s16, 0x1ff
	s_movk_i32 s63, 0xffe
	;; [unrolled: 1-line block ×3, first 2 shown]
	s_mov_b32 s65, 0x8000
	s_mov_b64 s[46:47], 0
	s_lshl_b64 s[48:49], s[24:25], 1
	s_branch .LBB32_3
.LBB32_2:                               ;   in Loop: Header=BB32_3 Depth=1
	v_add_u32_e32 v0, s59, v0
	v_cmp_le_i32_e32 vcc, s33, v0
	s_or_b64 s[46:47], vcc, s[46:47]
	s_andn2_b64 exec, exec, s[46:47]
	s_cbranch_execz .LBB32_30
.LBB32_3:                               ; =>This Loop Header: Depth=1
                                        ;     Child Loop BB32_8 Depth 2
                                        ;       Child Loop BB32_17 Depth 3
                                        ;         Child Loop BB32_24 Depth 4
	v_sub_u32_e32 v1, 0, v0
	v_max_i32_e32 v1, v0, v1
	v_mul_hi_u32 v2, v1, v15
	v_ashrrev_i32_e32 v4, 31, v0
	v_xor_b32_e32 v4, s52, v4
	s_mov_b64 s[0:1], -1
	v_mul_lo_u32 v3, v2, s57
	v_add_u32_e32 v5, 1, v2
	v_sub_u32_e32 v1, v1, v3
	v_cmp_le_u32_e32 vcc, s57, v1
	v_subrev_u32_e32 v3, s57, v1
	v_cndmask_b32_e32 v2, v2, v5, vcc
	v_cndmask_b32_e32 v1, v1, v3, vcc
	v_add_u32_e32 v3, 1, v2
	v_cmp_le_u32_e32 vcc, s57, v1
	v_cndmask_b32_e32 v1, v2, v3, vcc
	v_xor_b32_e32 v1, v1, v4
	v_sub_u32_e32 v20, v1, v4
	v_mul_lo_u32 v1, v20, s10
	v_sub_u32_e32 v7, v0, v1
	v_sub_u32_e32 v1, 0, v7
	v_max_i32_e32 v1, v7, v1
	v_mul_hi_u32 v2, v1, v16
	v_ashrrev_i32_e32 v8, 31, v7
	v_xor_b32_e32 v4, s25, v8
	v_mul_lo_u32 v3, v2, s58
	v_add_u32_e32 v5, 1, v2
	v_sub_u32_e32 v1, v1, v3
	v_cmp_le_u32_e32 vcc, s58, v1
	v_subrev_u32_e32 v3, s58, v1
	v_cndmask_b32_e32 v2, v2, v5, vcc
	v_cndmask_b32_e32 v1, v1, v3, vcc
	v_add_u32_e32 v3, 1, v2
	v_cmp_le_u32_e32 vcc, s58, v1
	v_cndmask_b32_e32 v1, v2, v3, vcc
	v_xor_b32_e32 v1, v1, v4
	v_sub_u32_e32 v21, v1, v4
	v_mul_lo_u32 v9, v21, s12
	s_andn2_b64 vcc, exec, s[2:3]
	v_ashrrev_i32_e32 v22, 31, v21
	v_sub_u32_e32 v3, v7, v9
	v_ashrrev_i32_e32 v4, 31, v3
	s_cbranch_vccnz .LBB32_5
; %bb.4:                                ;   in Loop: Header=BB32_3 Depth=1
	s_mov_b64 s[0:1], 0
.LBB32_5:                               ;   in Loop: Header=BB32_3 Depth=1
	v_mov_b32_e32 v1, 0
	v_mov_b32_e32 v2, 0
	s_andn2_b64 vcc, exec, s[0:1]
	s_cbranch_vccnz .LBB32_26
; %bb.6:                                ;   in Loop: Header=BB32_3 Depth=1
	v_mov_b32_e32 v1, s36
	v_mov_b32_e32 v2, s37
	v_mad_u64_u32 v[5:6], s[0:1], s4, v21, v[1:2]
	v_lshlrev_b64 v[1:2], 1, v[7:8]
	v_mul_lo_u32 v10, s5, v21
	v_mul_lo_u32 v11, s4, v22
	;; [unrolled: 1-line block ×4, first 2 shown]
	v_mad_u64_u32 v[1:2], s[0:1], s40, v21, v[1:2]
	v_add3_u32 v6, v10, v6, v11
	v_ashrrev_i32_e32 v10, 31, v9
	v_add3_u32 v2, v7, v2, v8
	v_lshlrev_b64 v[7:8], 1, v[9:10]
	v_add_u32_e32 v23, s20, v20
	v_sub_co_u32_e32 v1, vcc, v1, v7
	v_subb_co_u32_e32 v2, vcc, v2, v8, vcc
	v_mov_b32_e32 v8, s27
	v_add_co_u32_e32 v7, vcc, s26, v1
	v_addc_co_u32_e32 v8, vcc, v8, v2, vcc
	v_mov_b32_e32 v1, 0
	v_mov_b32_e32 v2, 0
	s_mov_b32 s66, 0
	s_branch .LBB32_8
.LBB32_7:                               ;   in Loop: Header=BB32_8 Depth=2
	s_add_i32 s66, s66, 1
	v_mov_b32_e32 v9, s43
	v_add_co_u32_e32 v7, vcc, s42, v7
	s_cmp_eq_u32 s66, s21
	v_addc_co_u32_e32 v8, vcc, v8, v9, vcc
	s_cbranch_scc1 .LBB32_26
.LBB32_8:                               ;   Parent Loop BB32_3 Depth=1
                                        ; =>  This Loop Header: Depth=2
                                        ;       Child Loop BB32_17 Depth 3
                                        ;         Child Loop BB32_24 Depth 4
	s_mul_i32 s0, s17, s66
	s_sub_i32 s71, s19, s0
	s_cmp_gt_i32 s71, -1
	s_cbranch_scc0 .LBB32_10
; %bb.9:                                ;   in Loop: Header=BB32_8 Depth=2
	s_abs_i32 s0, s71
	s_mul_hi_u32 s68, s0, s62
	s_mul_i32 s1, s68, s61
	s_sub_i32 s69, s0, s1
	s_ashr_i32 s67, s71, 31
	s_sub_i32 s70, s69, s61
	s_cmp_ge_u32 s69, s61
	s_cselect_b32 s0, s70, s69
	s_sub_i32 s1, s0, s61
	s_cmp_ge_u32 s0, s61
	s_cselect_b32 s0, s1, s0
	s_xor_b32 s0, s0, s67
	s_sub_i32 s0, s0, s67
	s_cmp_lg_u32 s0, 0
	s_cselect_b64 s[0:1], -1, 0
	s_cbranch_execz .LBB32_11
	s_branch .LBB32_12
.LBB32_10:                              ;   in Loop: Header=BB32_8 Depth=2
	s_mov_b64 s[0:1], 0
                                        ; implicit-def: $sgpr67
                                        ; implicit-def: $sgpr68
                                        ; implicit-def: $sgpr69
                                        ; implicit-def: $sgpr70
.LBB32_11:                              ;   in Loop: Header=BB32_8 Depth=2
	s_abs_i32 s0, s71
	s_mul_hi_u32 s68, s0, s62
	s_mul_i32 s1, s68, s61
	s_sub_i32 s69, s0, s1
	s_ashr_i32 s67, s71, 31
	s_sub_i32 s70, s69, s61
	s_mov_b64 s[0:1], -1
.LBB32_12:                              ;   in Loop: Header=BB32_8 Depth=2
	s_andn2_b64 vcc, exec, s[0:1]
	s_mov_b32 s0, 1
	s_cbranch_vccz .LBB32_14
; %bb.13:                               ;   in Loop: Header=BB32_8 Depth=2
	s_andn2_b64 vcc, exec, s[6:7]
	s_cbranch_vccz .LBB32_15
	s_branch .LBB32_7
.LBB32_14:                              ;   in Loop: Header=BB32_8 Depth=2
	s_mov_b32 s0, 0
	s_andn2_b64 vcc, exec, s[6:7]
	s_cbranch_vccnz .LBB32_7
.LBB32_15:                              ;   in Loop: Header=BB32_8 Depth=2
	s_xor_b32 s1, s67, s15
	s_add_i32 s50, s68, 1
	s_cmp_ge_u32 s69, s61
	s_cselect_b32 s50, s50, s68
	s_cselect_b32 s51, s70, s69
	s_add_i32 s67, s50, 1
	s_cmp_ge_u32 s51, s61
	s_cselect_b32 s50, s67, s50
	s_xor_b32 s50, s50, s1
	s_sub_i32 s1, s50, s1
	s_cmp_lt_i32 s1, s55
	v_mov_b32_e32 v10, v8
	s_mov_b32 s67, 0
	s_cselect_b32 s68, s0, 0
	s_mul_hi_i32 s69, s1, s14
	s_mul_i32 s70, s1, s14
	v_mov_b32_e32 v9, v7
	s_branch .LBB32_17
.LBB32_16:                              ;   in Loop: Header=BB32_17 Depth=3
	s_add_i32 s67, s67, 1
	v_mov_b32_e32 v11, s49
	v_add_co_u32_e32 v9, vcc, s48, v9
	s_cmp_eq_u32 s67, s22
	v_addc_co_u32_e32 v10, vcc, v10, v11, vcc
	s_cbranch_scc1 .LBB32_7
.LBB32_17:                              ;   Parent Loop BB32_3 Depth=1
                                        ;     Parent Loop BB32_8 Depth=2
                                        ; =>    This Loop Header: Depth=3
                                        ;         Child Loop BB32_24 Depth 4
	s_mul_i32 s0, s18, s67
	v_subrev_u32_e32 v11, s0, v23
	v_sub_u32_e32 v13, 0, v11
	v_cmp_gt_i32_e64 s[0:1], 0, v11
	v_cmp_lt_i32_e32 vcc, -1, v11
	v_ashrrev_i32_e32 v12, 31, v11
	v_max_i32_e32 v11, v11, v13
	s_and_saveexec_b64 s[50:51], vcc
	s_cbranch_execnz .LBB32_20
; %bb.18:                               ;   in Loop: Header=BB32_17 Depth=3
	s_or_b64 exec, exec, s[50:51]
	v_mov_b32_e32 v13, 1
	s_and_saveexec_b64 s[50:51], s[0:1]
	s_cbranch_execnz .LBB32_21
.LBB32_19:                              ;   in Loop: Header=BB32_17 Depth=3
	s_or_b64 exec, exec, s[50:51]
	s_andn2_b64 vcc, exec, s[8:9]
	s_cbranch_vccz .LBB32_22
	s_branch .LBB32_16
.LBB32_20:                              ;   in Loop: Header=BB32_17 Depth=3
	v_mul_hi_u32 v13, v11, v17
	s_andn2_b64 s[0:1], s[0:1], exec
	v_mul_lo_u32 v13, v13, s60
	v_sub_u32_e32 v13, v11, v13
	v_subrev_u32_e32 v14, s60, v13
	v_cmp_le_u32_e32 vcc, s60, v13
	v_cndmask_b32_e32 v13, v13, v14, vcc
	v_subrev_u32_e32 v14, s60, v13
	v_cmp_le_u32_e32 vcc, s60, v13
	v_cndmask_b32_e32 v13, v13, v14, vcc
	v_xor_b32_e32 v13, v13, v12
	v_sub_u32_e32 v13, v13, v12
	v_cmp_ne_u32_e32 vcc, 0, v13
	s_and_b64 s[72:73], vcc, exec
	s_or_b64 s[0:1], s[0:1], s[72:73]
	s_or_b64 exec, exec, s[50:51]
	v_mov_b32_e32 v13, 1
	s_and_saveexec_b64 s[50:51], s[0:1]
	s_cbranch_execz .LBB32_19
.LBB32_21:                              ;   in Loop: Header=BB32_17 Depth=3
	v_mov_b32_e32 v13, 0
	s_or_b64 exec, exec, s[50:51]
	s_andn2_b64 vcc, exec, s[8:9]
	s_cbranch_vccnz .LBB32_16
.LBB32_22:                              ;   in Loop: Header=BB32_17 Depth=3
	v_mul_hi_u32 v14, v11, v17
	v_xor_b32_e32 v12, s13, v12
	s_mov_b32 s50, s11
	v_mul_lo_u32 v24, v14, s60
	v_add_u32_e32 v25, 1, v14
	v_sub_u32_e32 v11, v11, v24
	v_cmp_le_u32_e32 vcc, s60, v11
	v_subrev_u32_e32 v24, s60, v11
	v_cndmask_b32_e32 v14, v14, v25, vcc
	v_cndmask_b32_e32 v11, v11, v24, vcc
	v_add_u32_e32 v24, 1, v14
	v_cmp_le_u32_e32 vcc, s60, v11
	v_cndmask_b32_e32 v11, v14, v24, vcc
	v_xor_b32_e32 v11, v11, v12
	v_sub_u32_e32 v11, v11, v12
	v_cmp_gt_i32_e32 vcc, s14, v11
	v_cndmask_b32_e32 v13, 0, v13, vcc
	v_ashrrev_i32_e32 v12, 31, v11
	v_mov_b32_e32 v14, s69
	v_add_co_u32_e32 v11, vcc, s70, v11
	v_addc_co_u32_e32 v12, vcc, v14, v12, vcc
	v_lshlrev_b64 v[11:12], 1, v[11:12]
	v_mov_b32_e32 v14, s39
	v_add_co_u32_e32 v11, vcc, s38, v11
	v_addc_co_u32_e32 v12, vcc, v14, v12, vcc
	v_mul_lo_u32 v14, s23, v12
	v_mul_lo_u32 v24, s56, v11
	v_mad_u64_u32 v[11:12], s[0:1], s23, v11, v[5:6]
	v_and_b32_e32 v13, s68, v13
	v_and_b32_e32 v13, 1, v13
	v_cmp_eq_u32_e32 vcc, 1, v13
	v_add3_u32 v12, v24, v12, v14
	v_mov_b32_e32 v14, v10
	v_mov_b32_e32 v13, v9
	s_branch .LBB32_24
.LBB32_23:                              ;   in Loop: Header=BB32_24 Depth=4
	s_or_b64 exec, exec, s[0:1]
	v_add_co_u32_e64 v11, s[0:1], 2, v11
	v_addc_co_u32_e64 v12, s[0:1], 0, v12, s[0:1]
	s_add_i32 s50, s50, -1
	v_mov_b32_e32 v24, s45
	v_add_co_u32_e64 v13, s[0:1], s44, v13
	s_cmp_eq_u32 s50, 0
	v_addc_co_u32_e64 v14, s[0:1], v14, v24, s[0:1]
	s_cbranch_scc1 .LBB32_16
.LBB32_24:                              ;   Parent Loop BB32_3 Depth=1
                                        ;     Parent Loop BB32_8 Depth=2
                                        ;       Parent Loop BB32_17 Depth=3
                                        ; =>      This Inner Loop Header: Depth=4
	s_and_saveexec_b64 s[0:1], vcc
	s_cbranch_execz .LBB32_23
; %bb.25:                               ;   in Loop: Header=BB32_24 Depth=4
	global_load_ushort v24, v[11:12], off
	global_load_ushort v25, v[13:14], off
	s_waitcnt vmcnt(1)
	v_cvt_f32_f16_e32 v24, v24
	s_waitcnt vmcnt(0)
	v_cvt_f32_f16_e32 v26, v25
	v_cvt_f64_f32_e32 v[24:25], v24
	v_cvt_f64_f32_e32 v[26:27], v26
	v_fma_f64 v[1:2], v[24:25], v[26:27], v[1:2]
	s_branch .LBB32_23
.LBB32_26:                              ;   in Loop: Header=BB32_3 Depth=1
	v_mad_i64_i32 v[3:4], s[0:1], v20, s10, v[3:4]
	v_mul_lo_u32 v5, v21, s25
	v_mul_lo_u32 v6, v22, s24
	v_mad_u64_u32 v[3:4], s[0:1], v21, s24, v[3:4]
	s_mov_b64 s[0:1], -1
	s_and_b64 vcc, exec, s[34:35]
	v_add3_u32 v4, v6, v4, v5
	v_lshlrev_b64 v[3:4], 1, v[3:4]
	s_cbranch_vccz .LBB32_28
; %bb.27:                               ;   in Loop: Header=BB32_3 Depth=1
	v_mov_b32_e32 v6, s54
	v_add_co_u32_e32 v5, vcc, s53, v3
	v_addc_co_u32_e32 v6, vcc, v6, v4, vcc
	global_load_ushort v7, v[5:6], off
	s_mov_b64 s[0:1], 0
	s_waitcnt vmcnt(0)
	v_cvt_f32_f16_e32 v7, v7
	v_cvt_f64_f32_e32 v[7:8], v7
	v_mul_f64 v[7:8], s[30:31], v[7:8]
	v_fma_f64 v[7:8], s[28:29], v[1:2], v[7:8]
	v_and_or_b32 v7, v8, s16, v7
	v_cmp_ne_u32_e32 vcc, 0, v7
	v_lshrrev_b32_e32 v9, 8, v8
	v_bfe_u32 v10, v8, 20, 11
	v_cndmask_b32_e64 v7, 0, 1, vcc
	v_sub_u32_e32 v11, 0x3f1, v10
	v_and_or_b32 v7, v9, s63, v7
	v_med3_i32 v9, v11, 0, 13
	v_or_b32_e32 v11, 0x1000, v7
	v_lshrrev_b32_e32 v13, v9, v11
	v_add_u32_e32 v10, 0xfffffc10, v10
	v_cmp_ne_u32_e32 vcc, 0, v7
	v_lshlrev_b32_e32 v9, v9, v13
	v_lshl_or_b32 v12, v10, 12, v7
	v_cndmask_b32_e32 v7, v18, v19, vcc
	v_cmp_ne_u32_e32 vcc, v9, v11
	v_cndmask_b32_e64 v9, 0, 1, vcc
	v_or_b32_e32 v9, v13, v9
	v_cmp_gt_i32_e32 vcc, 1, v10
	v_cndmask_b32_e32 v9, v12, v9, vcc
	v_and_b32_e32 v11, 7, v9
	v_cmp_lt_i32_e32 vcc, 5, v11
	v_cndmask_b32_e64 v12, 0, 1, vcc
	v_cmp_eq_u32_e32 vcc, 3, v11
	v_cndmask_b32_e64 v11, 0, 1, vcc
	v_lshrrev_b32_e32 v9, 2, v9
	v_or_b32_e32 v11, v11, v12
	v_add_u32_e32 v9, v9, v11
	v_cmp_gt_i32_e32 vcc, 31, v10
	v_cndmask_b32_e32 v9, v18, v9, vcc
	v_cmp_eq_u32_e32 vcc, s64, v10
	v_lshrrev_b32_e32 v8, 16, v8
	v_cndmask_b32_e32 v7, v9, v7, vcc
	v_and_or_b32 v7, v8, s65, v7
	global_store_short v[5:6], v7, off
.LBB32_28:                              ;   in Loop: Header=BB32_3 Depth=1
	s_andn2_b64 vcc, exec, s[0:1]
	s_cbranch_vccnz .LBB32_2
; %bb.29:                               ;   in Loop: Header=BB32_3 Depth=1
	v_and_or_b32 v1, v2, s16, v1
	v_cmp_ne_u32_e32 vcc, 0, v1
	v_cndmask_b32_e64 v1, 0, 1, vcc
	v_lshrrev_b32_e32 v5, 8, v2
	v_bfe_u32 v6, v2, 20, 11
	v_and_or_b32 v1, v5, s63, v1
	v_sub_u32_e32 v7, 0x3f1, v6
	v_or_b32_e32 v5, 0x1000, v1
	v_med3_i32 v7, v7, 0, 13
	v_lshrrev_b32_e32 v8, v7, v5
	v_lshlrev_b32_e32 v7, v7, v8
	v_cmp_ne_u32_e32 vcc, v7, v5
	v_cndmask_b32_e64 v5, 0, 1, vcc
	v_add_u32_e32 v6, 0xfffffc10, v6
	v_or_b32_e32 v5, v8, v5
	v_lshl_or_b32 v7, v6, 12, v1
	v_cmp_gt_i32_e32 vcc, 1, v6
	v_cndmask_b32_e32 v5, v7, v5, vcc
	v_and_b32_e32 v7, 7, v5
	v_cmp_lt_i32_e32 vcc, 5, v7
	v_cndmask_b32_e64 v8, 0, 1, vcc
	v_cmp_eq_u32_e32 vcc, 3, v7
	v_cndmask_b32_e64 v7, 0, 1, vcc
	v_or_b32_e32 v7, v7, v8
	v_lshrrev_b32_e32 v5, 2, v5
	v_add_u32_e32 v5, v5, v7
	v_cmp_gt_i32_e32 vcc, 31, v6
	v_cndmask_b32_e32 v5, v18, v5, vcc
	v_cmp_ne_u32_e32 vcc, 0, v1
	v_cndmask_b32_e32 v1, v18, v19, vcc
	v_cmp_eq_u32_e32 vcc, s64, v6
	v_cndmask_b32_e32 v1, v5, v1, vcc
	v_lshrrev_b32_e32 v2, 16, v2
	v_and_or_b32 v5, v2, s65, v1
	v_mov_b32_e32 v2, s54
	v_add_co_u32_e32 v1, vcc, s53, v3
	v_addc_co_u32_e32 v2, vcc, v2, v4, vcc
	global_store_short v[1:2], v5, off
	s_branch .LBB32_2
.LBB32_30:
	s_endpgm
	.section	.rodata,"a",@progbits
	.p2align	6, 0x0
	.amdhsa_kernel naive_conv_ab_packed_bwd_nhwc_half_double_half
		.amdhsa_group_segment_fixed_size 0
		.amdhsa_private_segment_fixed_size 0
		.amdhsa_kernarg_size 480
		.amdhsa_user_sgpr_count 6
		.amdhsa_user_sgpr_private_segment_buffer 1
		.amdhsa_user_sgpr_dispatch_ptr 0
		.amdhsa_user_sgpr_queue_ptr 0
		.amdhsa_user_sgpr_kernarg_segment_ptr 1
		.amdhsa_user_sgpr_dispatch_id 0
		.amdhsa_user_sgpr_flat_scratch_init 0
		.amdhsa_user_sgpr_private_segment_size 0
		.amdhsa_uses_dynamic_stack 0
		.amdhsa_system_sgpr_private_segment_wavefront_offset 0
		.amdhsa_system_sgpr_workgroup_id_x 1
		.amdhsa_system_sgpr_workgroup_id_y 0
		.amdhsa_system_sgpr_workgroup_id_z 0
		.amdhsa_system_sgpr_workgroup_info 0
		.amdhsa_system_vgpr_workitem_id 0
		.amdhsa_next_free_vgpr 28
		.amdhsa_next_free_sgpr 74
		.amdhsa_reserve_vcc 1
		.amdhsa_reserve_flat_scratch 0
		.amdhsa_float_round_mode_32 0
		.amdhsa_float_round_mode_16_64 0
		.amdhsa_float_denorm_mode_32 3
		.amdhsa_float_denorm_mode_16_64 3
		.amdhsa_dx10_clamp 1
		.amdhsa_ieee_mode 1
		.amdhsa_fp16_overflow 0
		.amdhsa_exception_fp_ieee_invalid_op 0
		.amdhsa_exception_fp_denorm_src 0
		.amdhsa_exception_fp_ieee_div_zero 0
		.amdhsa_exception_fp_ieee_overflow 0
		.amdhsa_exception_fp_ieee_underflow 0
		.amdhsa_exception_fp_ieee_inexact 0
		.amdhsa_exception_int_div_zero 0
	.end_amdhsa_kernel
	.text
.Lfunc_end32:
	.size	naive_conv_ab_packed_bwd_nhwc_half_double_half, .Lfunc_end32-naive_conv_ab_packed_bwd_nhwc_half_double_half
                                        ; -- End function
	.set naive_conv_ab_packed_bwd_nhwc_half_double_half.num_vgpr, 28
	.set naive_conv_ab_packed_bwd_nhwc_half_double_half.num_agpr, 0
	.set naive_conv_ab_packed_bwd_nhwc_half_double_half.numbered_sgpr, 74
	.set naive_conv_ab_packed_bwd_nhwc_half_double_half.num_named_barrier, 0
	.set naive_conv_ab_packed_bwd_nhwc_half_double_half.private_seg_size, 0
	.set naive_conv_ab_packed_bwd_nhwc_half_double_half.uses_vcc, 1
	.set naive_conv_ab_packed_bwd_nhwc_half_double_half.uses_flat_scratch, 0
	.set naive_conv_ab_packed_bwd_nhwc_half_double_half.has_dyn_sized_stack, 0
	.set naive_conv_ab_packed_bwd_nhwc_half_double_half.has_recursion, 0
	.set naive_conv_ab_packed_bwd_nhwc_half_double_half.has_indirect_call, 0
	.section	.AMDGPU.csdata,"",@progbits
; Kernel info:
; codeLenInByte = 2412
; TotalNumSgprs: 78
; NumVgprs: 28
; ScratchSize: 0
; MemoryBound: 0
; FloatMode: 240
; IeeeMode: 1
; LDSByteSize: 0 bytes/workgroup (compile time only)
; SGPRBlocks: 9
; VGPRBlocks: 6
; NumSGPRsForWavesPerEU: 78
; NumVGPRsForWavesPerEU: 28
; Occupancy: 9
; WaveLimiterHint : 0
; COMPUTE_PGM_RSRC2:SCRATCH_EN: 0
; COMPUTE_PGM_RSRC2:USER_SGPR: 6
; COMPUTE_PGM_RSRC2:TRAP_HANDLER: 0
; COMPUTE_PGM_RSRC2:TGID_X_EN: 1
; COMPUTE_PGM_RSRC2:TGID_Y_EN: 0
; COMPUTE_PGM_RSRC2:TGID_Z_EN: 0
; COMPUTE_PGM_RSRC2:TIDIG_COMP_CNT: 0
	.text
	.protected	naive_conv_ab_nonpacked_bwd_nhwc_half_double_half ; -- Begin function naive_conv_ab_nonpacked_bwd_nhwc_half_double_half
	.globl	naive_conv_ab_nonpacked_bwd_nhwc_half_double_half
	.p2align	8
	.type	naive_conv_ab_nonpacked_bwd_nhwc_half_double_half,@function
naive_conv_ab_nonpacked_bwd_nhwc_half_double_half: ; @naive_conv_ab_nonpacked_bwd_nhwc_half_double_half
; %bb.0:
	s_load_dwordx16 s[8:23], s[4:5], 0xa0
	s_abs_i32 s1, s6
	s_waitcnt lgkmcnt(0)
	s_abs_i32 s0, s8
	v_cvt_f32_u32_e32 v1, s0
	s_sub_i32 s2, 0, s0
	v_rcp_iflag_f32_e32 v1, v1
	v_mul_f32_e32 v1, 0x4f7ffffe, v1
	v_cvt_u32_f32_e32 v1, v1
	v_readfirstlane_b32 s3, v1
	s_mul_i32 s2, s2, s3
	s_mul_hi_u32 s2, s3, s2
	s_add_i32 s3, s3, s2
	s_mul_hi_u32 s2, s1, s3
	s_mul_i32 s3, s2, s0
	s_sub_i32 s1, s1, s3
	s_add_i32 s7, s2, 1
	s_sub_i32 s3, s1, s0
	s_cmp_ge_u32 s1, s0
	s_cselect_b32 s2, s7, s2
	s_cselect_b32 s1, s3, s1
	s_add_i32 s3, s2, 1
	s_cmp_ge_u32 s1, s0
	s_cselect_b32 s1, s3, s2
	s_abs_i32 s0, s10
	v_cvt_f32_u32_e32 v1, s0
	s_mul_i32 s10, s23, s12
	s_mul_i32 s23, s10, s9
	v_cmp_gt_i32_e32 vcc, s23, v0
	v_rcp_iflag_f32_e32 v1, v1
	v_mul_f32_e32 v1, 0x4f7ffffe, v1
	v_cvt_u32_f32_e32 v1, v1
	v_readfirstlane_b32 s2, v1
	s_and_saveexec_b64 s[24:25], vcc
	s_cbranch_execz .LBB33_30
; %bb.1:
	s_xor_b32 s3, s6, s8
	s_ashr_i32 s3, s3, 31
	s_sub_i32 s9, 0, s0
	s_xor_b32 s1, s1, s3
	s_mul_i32 s9, s9, s2
	s_sub_i32 s1, s1, s3
	s_mul_hi_u32 s9, s2, s9
	s_abs_i32 s7, s1
	s_add_i32 s2, s2, s9
	s_mul_hi_u32 s2, s7, s2
	s_ashr_i32 s3, s1, 31
	s_mul_i32 s1, s1, s8
	s_mul_i32 s2, s2, s0
	s_sub_i32 s8, s6, s1
	s_sub_i32 s1, s7, s2
	;; [unrolled: 1-line block ×3, first 2 shown]
	s_cmp_ge_u32 s1, s0
	s_cselect_b32 s1, s2, s1
	s_sub_i32 s2, s1, s0
	s_cmp_ge_u32 s1, s0
	s_load_dwordx16 s[36:51], s[4:5], 0x28
	s_load_dwordx2 s[52:53], s[4:5], 0x98
	s_cselect_b32 s0, s2, s1
	s_xor_b32 s0, s0, s3
	s_sub_i32 s54, s0, s3
	s_load_dwordx8 s[24:31], s[4:5], 0x0
	s_ashr_i32 s55, s54, 31
	s_waitcnt lgkmcnt(0)
	s_mul_i32 s0, s44, s55
	s_mul_hi_u32 s1, s44, s54
	s_ashr_i32 s2, s8, 31
	s_add_i32 s0, s1, s0
	s_mul_i32 s1, s45, s54
	s_mul_i32 s2, s42, s2
	s_mul_hi_u32 s3, s42, s8
	s_add_i32 s1, s0, s1
	s_mul_i32 s0, s44, s54
	s_add_i32 s2, s3, s2
	s_mul_i32 s3, s43, s8
	s_add_i32 s3, s2, s3
	s_lshl_b64 s[0:1], s[0:1], 1
	s_mul_i32 s2, s42, s8
	s_add_u32 s6, s24, s0
	s_addc_u32 s7, s25, s1
	s_lshl_b64 s[0:1], s[2:3], 1
	s_add_u32 s33, s6, s0
	s_addc_u32 s62, s7, s1
	s_cmp_lt_i32 s21, 1
	s_cselect_b64 s[6:7], -1, 0
	s_add_i32 s19, s8, s19
	s_cmp_gt_i32 s22, 0
	s_cselect_b64 s[8:9], -1, 0
	s_cmp_gt_i32 s11, 0
	s_cselect_b64 s[24:25], -1, 0
	s_abs_i32 s63, s15
	v_cvt_f32_u32_e32 v1, s63
	s_mul_i32 s42, s52, s55
	s_mul_hi_u32 s43, s52, s54
	s_abs_i32 s67, s10
	v_rcp_iflag_f32_e32 v1, v1
	s_abs_i32 s69, s12
	s_ashr_i32 s70, s16, 31
	s_abs_i32 s16, s16
	v_mul_f32_e32 v1, 0x4f7ffffe, v1
	v_cvt_u32_f32_e32 v1, v1
	s_add_i32 s43, s43, s42
	s_mul_i32 s42, s52, s54
	v_cvt_f32_u32_e32 v3, s69
	v_readfirstlane_b32 s52, v1
	v_cvt_f32_u32_e32 v1, s67
	v_cvt_f32_u32_e32 v5, s16
	v_rcp_iflag_f32_e32 v3, v3
	v_cmp_neq_f64_e64 s[0:1], s[28:29], 1.0
	v_rcp_iflag_f32_e32 v1, v1
	v_rcp_iflag_f32_e32 v5, v5
	v_cmp_neq_f64_e64 s[2:3], s[30:31], 0
	v_mul_f32_e32 v3, 0x4f7ffffe, v3
	v_mul_f32_e32 v1, 0x4f7ffffe, v1
	;; [unrolled: 1-line block ×3, first 2 shown]
	v_cvt_u32_f32_e32 v1, v1
	v_cvt_u32_f32_e32 v3, v3
	;; [unrolled: 1-line block ×3, first 2 shown]
	s_mul_i32 s44, s53, s54
	s_add_i32 s43, s43, s44
	s_sub_i32 s44, 0, s63
	s_mul_i32 s44, s44, s52
	s_sub_i32 s71, 0, s67
	s_sub_i32 s74, 0, s69
	;; [unrolled: 1-line block ×3, first 2 shown]
	s_mul_hi_u32 s44, s52, s44
	v_mul_lo_u32 v2, s71, v1
	v_mul_lo_u32 v4, s74, v3
	;; [unrolled: 1-line block ×3, first 2 shown]
	s_or_b64 s[34:35], s[0:1], s[2:3]
	s_load_dwordx4 s[0:3], s[4:5], 0x88
	s_load_dword s45, s[4:5], 0xec
	s_add_i32 s64, s52, s44
	s_load_dwordx8 s[52:59], s[4:5], 0x68
	s_load_dwordx2 s[72:73], s[4:5], 0x20
	v_mul_hi_u32 v2, v1, v2
	v_mul_hi_u32 v4, v3, v4
	;; [unrolled: 1-line block ×3, first 2 shown]
	s_waitcnt lgkmcnt(0)
	s_and_b32 s65, s45, 0xffff
	s_lshl_b64 s[60:61], s[42:43], 1
	s_ashr_i32 s66, s10, 31
	s_ashr_i32 s68, s12, 31
	;; [unrolled: 1-line block ×3, first 2 shown]
	s_lshl_b64 s[42:43], s[46:47], 1
	s_lshl_b64 s[4:5], s[54:55], 1
	;; [unrolled: 1-line block ×5, first 2 shown]
	s_add_u32 s50, s72, s60
	s_addc_u32 s51, s73, s61
	s_lshl_b64 s[52:53], s[58:59], 1
	s_lshl_b64 s[54:55], s[56:57], 1
	s_lshl_b64 s[2:3], s[2:3], 1
	s_lshl_b64 s[56:57], s[0:1], 1
	v_add_u32_e32 v15, v1, v2
	v_add_u32_e32 v16, v3, v4
	;; [unrolled: 1-line block ×3, first 2 shown]
	v_mov_b32_e32 v18, 0x7c00
	v_mov_b32_e32 v19, 0x7e00
	s_movk_i32 s71, 0x1ff
	s_movk_i32 s72, 0xffe
	;; [unrolled: 1-line block ×3, first 2 shown]
	s_mov_b32 s74, 0x8000
	s_mov_b64 s[58:59], 0
	s_branch .LBB33_3
.LBB33_2:                               ;   in Loop: Header=BB33_3 Depth=1
	v_add_u32_e32 v0, s65, v0
	v_cmp_le_i32_e32 vcc, s23, v0
	s_or_b64 s[58:59], vcc, s[58:59]
	s_andn2_b64 exec, exec, s[58:59]
	s_cbranch_execz .LBB33_30
.LBB33_3:                               ; =>This Loop Header: Depth=1
                                        ;     Child Loop BB33_8 Depth 2
                                        ;       Child Loop BB33_17 Depth 3
                                        ;         Child Loop BB33_24 Depth 4
	v_sub_u32_e32 v1, 0, v0
	v_max_i32_e32 v1, v0, v1
	v_mul_hi_u32 v2, v1, v15
	v_ashrrev_i32_e32 v4, 31, v0
	v_xor_b32_e32 v4, s66, v4
	s_mov_b64 s[0:1], -1
	v_mul_lo_u32 v3, v2, s67
	v_add_u32_e32 v5, 1, v2
	v_sub_u32_e32 v1, v1, v3
	v_cmp_le_u32_e32 vcc, s67, v1
	v_subrev_u32_e32 v3, s67, v1
	v_cndmask_b32_e32 v2, v2, v5, vcc
	v_cndmask_b32_e32 v1, v1, v3, vcc
	v_add_u32_e32 v3, 1, v2
	v_cmp_le_u32_e32 vcc, s67, v1
	v_cndmask_b32_e32 v1, v2, v3, vcc
	v_xor_b32_e32 v1, v1, v4
	v_sub_u32_e32 v20, v1, v4
	v_mul_lo_u32 v1, v20, s10
	v_sub_u32_e32 v3, v0, v1
	v_sub_u32_e32 v1, 0, v3
	v_max_i32_e32 v1, v3, v1
	v_mul_hi_u32 v2, v1, v16
	v_ashrrev_i32_e32 v4, 31, v3
	v_xor_b32_e32 v6, s68, v4
	v_mul_lo_u32 v5, v2, s69
	v_add_u32_e32 v7, 1, v2
	v_sub_u32_e32 v1, v1, v5
	v_cmp_le_u32_e32 vcc, s69, v1
	v_subrev_u32_e32 v5, s69, v1
	v_cndmask_b32_e32 v2, v2, v7, vcc
	v_cndmask_b32_e32 v1, v1, v5, vcc
	v_add_u32_e32 v5, 1, v2
	v_cmp_le_u32_e32 vcc, s69, v1
	v_cndmask_b32_e32 v1, v2, v5, vcc
	v_xor_b32_e32 v1, v1, v6
	v_sub_u32_e32 v21, v1, v6
	v_mul_lo_u32 v5, v21, s12
	s_andn2_b64 vcc, exec, s[6:7]
	v_ashrrev_i32_e32 v22, 31, v21
	v_sub_u32_e32 v23, v3, v5
	v_ashrrev_i32_e32 v24, 31, v23
	s_cbranch_vccnz .LBB33_5
; %bb.4:                                ;   in Loop: Header=BB33_3 Depth=1
	s_mov_b64 s[0:1], 0
.LBB33_5:                               ;   in Loop: Header=BB33_3 Depth=1
	v_mov_b32_e32 v1, 0
	v_mov_b32_e32 v2, 0
	s_andn2_b64 vcc, exec, s[0:1]
	s_cbranch_vccnz .LBB33_26
; %bb.6:                                ;   in Loop: Header=BB33_3 Depth=1
	v_mul_lo_u32 v7, s5, v21
	v_mul_lo_u32 v8, s4, v22
	v_mad_u64_u32 v[1:2], s[0:1], s4, v21, 0
	v_ashrrev_i32_e32 v6, 31, v5
	v_sub_co_u32_e32 v3, vcc, v3, v5
	v_subb_co_u32_e32 v4, vcc, v4, v6, vcc
	v_add3_u32 v2, v2, v8, v7
	v_mad_u64_u32 v[1:2], s[0:1], s42, v3, v[1:2]
	v_mul_lo_u32 v4, s42, v4
	v_mul_lo_u32 v3, s43, v3
	;; [unrolled: 1-line block ×3, first 2 shown]
	v_mov_b32_e32 v7, s27
	v_add_co_u32_e32 v5, vcc, s26, v1
	v_add3_u32 v6, v3, v2, v4
	v_mov_b32_e32 v2, s50
	v_mov_b32_e32 v3, s51
	v_mad_u64_u32 v[3:4], s[0:1], s52, v21, v[2:3]
	v_mul_lo_u32 v2, s53, v21
	v_add_u32_e32 v25, s20, v20
	v_addc_co_u32_e32 v6, vcc, v7, v6, vcc
	v_add3_u32 v4, v2, v4, v8
	v_mov_b32_e32 v1, 0
	v_mov_b32_e32 v2, 0
	s_mov_b32 s75, 0
	s_branch .LBB33_8
.LBB33_7:                               ;   in Loop: Header=BB33_8 Depth=2
	s_add_i32 s75, s75, 1
	v_mov_b32_e32 v7, s45
	v_add_co_u32_e32 v5, vcc, s44, v5
	s_cmp_eq_u32 s75, s21
	v_addc_co_u32_e32 v6, vcc, v6, v7, vcc
	s_cbranch_scc1 .LBB33_26
.LBB33_8:                               ;   Parent Loop BB33_3 Depth=1
                                        ; =>  This Loop Header: Depth=2
                                        ;       Child Loop BB33_17 Depth 3
                                        ;         Child Loop BB33_24 Depth 4
	s_mul_i32 s0, s17, s75
	s_sub_i32 s80, s19, s0
	s_cmp_gt_i32 s80, -1
	s_cbranch_scc0 .LBB33_10
; %bb.9:                                ;   in Loop: Header=BB33_8 Depth=2
	s_abs_i32 s0, s80
	s_mul_hi_u32 s77, s0, s64
	s_mul_i32 s1, s77, s63
	s_sub_i32 s78, s0, s1
	s_ashr_i32 s76, s80, 31
	s_sub_i32 s79, s78, s63
	s_cmp_ge_u32 s78, s63
	s_cselect_b32 s0, s79, s78
	s_sub_i32 s1, s0, s63
	s_cmp_ge_u32 s0, s63
	s_cselect_b32 s0, s1, s0
	s_xor_b32 s0, s0, s76
	s_sub_i32 s0, s0, s76
	s_cmp_lg_u32 s0, 0
	s_cselect_b64 s[0:1], -1, 0
	s_cbranch_execz .LBB33_11
	s_branch .LBB33_12
.LBB33_10:                              ;   in Loop: Header=BB33_8 Depth=2
	s_mov_b64 s[0:1], 0
                                        ; implicit-def: $sgpr76
                                        ; implicit-def: $sgpr77
                                        ; implicit-def: $sgpr78
                                        ; implicit-def: $sgpr79
.LBB33_11:                              ;   in Loop: Header=BB33_8 Depth=2
	s_abs_i32 s0, s80
	s_mul_hi_u32 s77, s0, s64
	s_mul_i32 s1, s77, s63
	s_sub_i32 s78, s0, s1
	s_ashr_i32 s76, s80, 31
	s_sub_i32 s79, s78, s63
	s_mov_b64 s[0:1], -1
.LBB33_12:                              ;   in Loop: Header=BB33_8 Depth=2
	s_andn2_b64 vcc, exec, s[0:1]
	s_mov_b32 s0, 1
	s_cbranch_vccz .LBB33_14
; %bb.13:                               ;   in Loop: Header=BB33_8 Depth=2
	s_andn2_b64 vcc, exec, s[8:9]
	s_cbranch_vccz .LBB33_15
	s_branch .LBB33_7
.LBB33_14:                              ;   in Loop: Header=BB33_8 Depth=2
	s_mov_b32 s0, 0
	s_andn2_b64 vcc, exec, s[8:9]
	s_cbranch_vccnz .LBB33_7
.LBB33_15:                              ;   in Loop: Header=BB33_8 Depth=2
	s_xor_b32 s1, s76, s15
	s_add_i32 s60, s77, 1
	s_cmp_ge_u32 s78, s63
	s_cselect_b32 s60, s60, s77
	s_cselect_b32 s61, s79, s78
	s_add_i32 s76, s60, 1
	s_cmp_ge_u32 s61, s63
	s_cselect_b32 s60, s76, s60
	s_xor_b32 s60, s60, s1
	s_sub_i32 s60, s60, s1
	s_cmp_lt_i32 s60, s13
	v_mov_b32_e32 v7, s60
	s_cselect_b32 s77, s0, 0
	v_mad_u64_u32 v[7:8], s[0:1], s2, v7, v[3:4]
	s_ashr_i32 s61, s60, 31
	s_mul_i32 s0, s2, s61
	s_mul_i32 s1, s3, s60
	s_add_i32 s0, s0, s1
	v_mov_b32_e32 v10, v6
	s_mov_b32 s76, 0
	v_add_u32_e32 v8, s0, v8
	v_mov_b32_e32 v9, v5
	s_branch .LBB33_17
.LBB33_16:                              ;   in Loop: Header=BB33_17 Depth=3
	s_add_i32 s76, s76, 1
	v_mov_b32_e32 v11, s47
	v_add_co_u32_e32 v9, vcc, s46, v9
	s_cmp_eq_u32 s76, s22
	v_addc_co_u32_e32 v10, vcc, v10, v11, vcc
	s_cbranch_scc1 .LBB33_7
.LBB33_17:                              ;   Parent Loop BB33_3 Depth=1
                                        ;     Parent Loop BB33_8 Depth=2
                                        ; =>    This Loop Header: Depth=3
                                        ;         Child Loop BB33_24 Depth 4
	s_mul_i32 s0, s18, s76
	v_subrev_u32_e32 v11, s0, v25
	v_sub_u32_e32 v13, 0, v11
	v_cmp_gt_i32_e64 s[0:1], 0, v11
	v_cmp_lt_i32_e32 vcc, -1, v11
	v_ashrrev_i32_e32 v12, 31, v11
	v_max_i32_e32 v11, v11, v13
	s_and_saveexec_b64 s[60:61], vcc
	s_cbranch_execnz .LBB33_20
; %bb.18:                               ;   in Loop: Header=BB33_17 Depth=3
	s_or_b64 exec, exec, s[60:61]
	v_mov_b32_e32 v13, 1
	s_and_saveexec_b64 s[60:61], s[0:1]
	s_cbranch_execnz .LBB33_21
.LBB33_19:                              ;   in Loop: Header=BB33_17 Depth=3
	s_or_b64 exec, exec, s[60:61]
	s_andn2_b64 vcc, exec, s[24:25]
	s_cbranch_vccz .LBB33_22
	s_branch .LBB33_16
.LBB33_20:                              ;   in Loop: Header=BB33_17 Depth=3
	v_mul_hi_u32 v13, v11, v17
	s_andn2_b64 s[0:1], s[0:1], exec
	v_mul_lo_u32 v13, v13, s16
	v_sub_u32_e32 v13, v11, v13
	v_subrev_u32_e32 v14, s16, v13
	v_cmp_le_u32_e32 vcc, s16, v13
	v_cndmask_b32_e32 v13, v13, v14, vcc
	v_subrev_u32_e32 v14, s16, v13
	v_cmp_le_u32_e32 vcc, s16, v13
	v_cndmask_b32_e32 v13, v13, v14, vcc
	v_xor_b32_e32 v13, v13, v12
	v_sub_u32_e32 v13, v13, v12
	v_cmp_ne_u32_e32 vcc, 0, v13
	s_and_b64 s[78:79], vcc, exec
	s_or_b64 s[0:1], s[0:1], s[78:79]
	s_or_b64 exec, exec, s[60:61]
	v_mov_b32_e32 v13, 1
	s_and_saveexec_b64 s[60:61], s[0:1]
	s_cbranch_execz .LBB33_19
.LBB33_21:                              ;   in Loop: Header=BB33_17 Depth=3
	v_mov_b32_e32 v13, 0
	s_or_b64 exec, exec, s[60:61]
	s_andn2_b64 vcc, exec, s[24:25]
	s_cbranch_vccnz .LBB33_16
.LBB33_22:                              ;   in Loop: Header=BB33_17 Depth=3
	v_mul_hi_u32 v14, v11, v17
	v_xor_b32_e32 v12, s70, v12
	s_mov_b32 s60, s11
	v_mul_lo_u32 v26, v14, s16
	v_add_u32_e32 v27, 1, v14
	v_sub_u32_e32 v11, v11, v26
	v_cmp_le_u32_e32 vcc, s16, v11
	v_subrev_u32_e32 v26, s16, v11
	v_cndmask_b32_e32 v14, v14, v27, vcc
	v_cndmask_b32_e32 v11, v11, v26, vcc
	v_add_u32_e32 v26, 1, v14
	v_cmp_le_u32_e32 vcc, s16, v11
	v_cndmask_b32_e32 v11, v14, v26, vcc
	v_xor_b32_e32 v11, v11, v12
	v_sub_u32_e32 v11, v11, v12
	v_ashrrev_i32_e32 v12, 31, v11
	v_cmp_gt_i32_e32 vcc, s14, v11
	v_mul_lo_u32 v14, s56, v12
	v_mul_lo_u32 v26, s57, v11
	v_mad_u64_u32 v[11:12], s[0:1], s56, v11, v[7:8]
	v_cndmask_b32_e32 v13, 0, v13, vcc
	v_and_b32_e32 v13, s77, v13
	v_and_b32_e32 v13, 1, v13
	v_cmp_eq_u32_e32 vcc, 1, v13
	v_add3_u32 v12, v26, v12, v14
	v_mov_b32_e32 v14, v10
	v_mov_b32_e32 v13, v9
	s_branch .LBB33_24
.LBB33_23:                              ;   in Loop: Header=BB33_24 Depth=4
	s_or_b64 exec, exec, s[0:1]
	v_mov_b32_e32 v26, s49
	v_add_co_u32_e64 v13, s[0:1], s48, v13
	v_addc_co_u32_e64 v14, s[0:1], v14, v26, s[0:1]
	s_add_i32 s60, s60, -1
	v_mov_b32_e32 v26, s55
	v_add_co_u32_e64 v11, s[0:1], s54, v11
	s_cmp_eq_u32 s60, 0
	v_addc_co_u32_e64 v12, s[0:1], v12, v26, s[0:1]
	s_cbranch_scc1 .LBB33_16
.LBB33_24:                              ;   Parent Loop BB33_3 Depth=1
                                        ;     Parent Loop BB33_8 Depth=2
                                        ;       Parent Loop BB33_17 Depth=3
                                        ; =>      This Inner Loop Header: Depth=4
	s_and_saveexec_b64 s[0:1], vcc
	s_cbranch_execz .LBB33_23
; %bb.25:                               ;   in Loop: Header=BB33_24 Depth=4
	global_load_ushort v26, v[11:12], off
	global_load_ushort v27, v[13:14], off
	s_waitcnt vmcnt(1)
	v_cvt_f32_f16_e32 v26, v26
	s_waitcnt vmcnt(0)
	v_cvt_f32_f16_e32 v28, v27
	v_cvt_f64_f32_e32 v[26:27], v26
	v_cvt_f64_f32_e32 v[28:29], v28
	v_fma_f64 v[1:2], v[26:27], v[28:29], v[1:2]
	s_branch .LBB33_23
.LBB33_26:                              ;   in Loop: Header=BB33_3 Depth=1
	v_ashrrev_i32_e32 v5, 31, v20
	v_mul_lo_u32 v6, s41, v20
	v_mad_u64_u32 v[3:4], s[0:1], s40, v20, 0
	v_mul_lo_u32 v5, s40, v5
	s_and_b64 vcc, exec, s[34:35]
	v_add3_u32 v4, v4, v5, v6
	v_mul_lo_u32 v5, v23, s37
	v_mul_lo_u32 v6, v24, s36
	v_mad_u64_u32 v[3:4], s[0:1], v23, s36, v[3:4]
	v_add3_u32 v4, v6, v4, v5
	v_mul_lo_u32 v5, v21, s39
	v_mul_lo_u32 v6, v22, s38
	v_mad_u64_u32 v[3:4], s[0:1], v21, s38, v[3:4]
	s_mov_b64 s[0:1], -1
	v_add3_u32 v4, v6, v4, v5
	v_lshlrev_b64 v[3:4], 1, v[3:4]
	s_cbranch_vccz .LBB33_28
; %bb.27:                               ;   in Loop: Header=BB33_3 Depth=1
	v_mov_b32_e32 v6, s62
	v_add_co_u32_e32 v5, vcc, s33, v3
	v_addc_co_u32_e32 v6, vcc, v6, v4, vcc
	global_load_ushort v7, v[5:6], off
	s_mov_b64 s[0:1], 0
	s_waitcnt vmcnt(0)
	v_cvt_f32_f16_e32 v7, v7
	v_cvt_f64_f32_e32 v[7:8], v7
	v_mul_f64 v[7:8], s[30:31], v[7:8]
	v_fma_f64 v[7:8], s[28:29], v[1:2], v[7:8]
	v_and_or_b32 v7, v8, s71, v7
	v_cmp_ne_u32_e32 vcc, 0, v7
	v_lshrrev_b32_e32 v9, 8, v8
	v_bfe_u32 v10, v8, 20, 11
	v_cndmask_b32_e64 v7, 0, 1, vcc
	v_sub_u32_e32 v11, 0x3f1, v10
	v_and_or_b32 v7, v9, s72, v7
	v_med3_i32 v9, v11, 0, 13
	v_or_b32_e32 v11, 0x1000, v7
	v_lshrrev_b32_e32 v13, v9, v11
	v_add_u32_e32 v10, 0xfffffc10, v10
	v_cmp_ne_u32_e32 vcc, 0, v7
	v_lshlrev_b32_e32 v9, v9, v13
	v_lshl_or_b32 v12, v10, 12, v7
	v_cndmask_b32_e32 v7, v18, v19, vcc
	v_cmp_ne_u32_e32 vcc, v9, v11
	v_cndmask_b32_e64 v9, 0, 1, vcc
	v_or_b32_e32 v9, v13, v9
	v_cmp_gt_i32_e32 vcc, 1, v10
	v_cndmask_b32_e32 v9, v12, v9, vcc
	v_and_b32_e32 v11, 7, v9
	v_cmp_lt_i32_e32 vcc, 5, v11
	v_cndmask_b32_e64 v12, 0, 1, vcc
	v_cmp_eq_u32_e32 vcc, 3, v11
	v_cndmask_b32_e64 v11, 0, 1, vcc
	v_lshrrev_b32_e32 v9, 2, v9
	v_or_b32_e32 v11, v11, v12
	v_add_u32_e32 v9, v9, v11
	v_cmp_gt_i32_e32 vcc, 31, v10
	v_cndmask_b32_e32 v9, v18, v9, vcc
	v_cmp_eq_u32_e32 vcc, s73, v10
	v_lshrrev_b32_e32 v8, 16, v8
	v_cndmask_b32_e32 v7, v9, v7, vcc
	v_and_or_b32 v7, v8, s74, v7
	global_store_short v[5:6], v7, off
.LBB33_28:                              ;   in Loop: Header=BB33_3 Depth=1
	s_andn2_b64 vcc, exec, s[0:1]
	s_cbranch_vccnz .LBB33_2
; %bb.29:                               ;   in Loop: Header=BB33_3 Depth=1
	v_and_or_b32 v1, v2, s71, v1
	v_cmp_ne_u32_e32 vcc, 0, v1
	v_cndmask_b32_e64 v1, 0, 1, vcc
	v_lshrrev_b32_e32 v5, 8, v2
	v_bfe_u32 v6, v2, 20, 11
	v_and_or_b32 v1, v5, s72, v1
	v_sub_u32_e32 v7, 0x3f1, v6
	v_or_b32_e32 v5, 0x1000, v1
	v_med3_i32 v7, v7, 0, 13
	v_lshrrev_b32_e32 v8, v7, v5
	v_lshlrev_b32_e32 v7, v7, v8
	v_cmp_ne_u32_e32 vcc, v7, v5
	v_cndmask_b32_e64 v5, 0, 1, vcc
	v_add_u32_e32 v6, 0xfffffc10, v6
	v_or_b32_e32 v5, v8, v5
	v_lshl_or_b32 v7, v6, 12, v1
	v_cmp_gt_i32_e32 vcc, 1, v6
	v_cndmask_b32_e32 v5, v7, v5, vcc
	v_and_b32_e32 v7, 7, v5
	v_cmp_lt_i32_e32 vcc, 5, v7
	v_cndmask_b32_e64 v8, 0, 1, vcc
	v_cmp_eq_u32_e32 vcc, 3, v7
	v_cndmask_b32_e64 v7, 0, 1, vcc
	v_or_b32_e32 v7, v7, v8
	v_lshrrev_b32_e32 v5, 2, v5
	v_add_u32_e32 v5, v5, v7
	v_cmp_gt_i32_e32 vcc, 31, v6
	v_cndmask_b32_e32 v5, v18, v5, vcc
	v_cmp_ne_u32_e32 vcc, 0, v1
	v_cndmask_b32_e32 v1, v18, v19, vcc
	v_cmp_eq_u32_e32 vcc, s73, v6
	v_cndmask_b32_e32 v1, v5, v1, vcc
	v_lshrrev_b32_e32 v2, 16, v2
	v_and_or_b32 v5, v2, s74, v1
	v_mov_b32_e32 v2, s62
	v_add_co_u32_e32 v1, vcc, s33, v3
	v_addc_co_u32_e32 v2, vcc, v2, v4, vcc
	global_store_short v[1:2], v5, off
	s_branch .LBB33_2
.LBB33_30:
	s_endpgm
	.section	.rodata,"a",@progbits
	.p2align	6, 0x0
	.amdhsa_kernel naive_conv_ab_nonpacked_bwd_nhwc_half_double_half
		.amdhsa_group_segment_fixed_size 0
		.amdhsa_private_segment_fixed_size 0
		.amdhsa_kernarg_size 480
		.amdhsa_user_sgpr_count 6
		.amdhsa_user_sgpr_private_segment_buffer 1
		.amdhsa_user_sgpr_dispatch_ptr 0
		.amdhsa_user_sgpr_queue_ptr 0
		.amdhsa_user_sgpr_kernarg_segment_ptr 1
		.amdhsa_user_sgpr_dispatch_id 0
		.amdhsa_user_sgpr_flat_scratch_init 0
		.amdhsa_user_sgpr_private_segment_size 0
		.amdhsa_uses_dynamic_stack 0
		.amdhsa_system_sgpr_private_segment_wavefront_offset 0
		.amdhsa_system_sgpr_workgroup_id_x 1
		.amdhsa_system_sgpr_workgroup_id_y 0
		.amdhsa_system_sgpr_workgroup_id_z 0
		.amdhsa_system_sgpr_workgroup_info 0
		.amdhsa_system_vgpr_workitem_id 0
		.amdhsa_next_free_vgpr 30
		.amdhsa_next_free_sgpr 81
		.amdhsa_reserve_vcc 1
		.amdhsa_reserve_flat_scratch 0
		.amdhsa_float_round_mode_32 0
		.amdhsa_float_round_mode_16_64 0
		.amdhsa_float_denorm_mode_32 3
		.amdhsa_float_denorm_mode_16_64 3
		.amdhsa_dx10_clamp 1
		.amdhsa_ieee_mode 1
		.amdhsa_fp16_overflow 0
		.amdhsa_exception_fp_ieee_invalid_op 0
		.amdhsa_exception_fp_denorm_src 0
		.amdhsa_exception_fp_ieee_div_zero 0
		.amdhsa_exception_fp_ieee_overflow 0
		.amdhsa_exception_fp_ieee_underflow 0
		.amdhsa_exception_fp_ieee_inexact 0
		.amdhsa_exception_int_div_zero 0
	.end_amdhsa_kernel
	.text
.Lfunc_end33:
	.size	naive_conv_ab_nonpacked_bwd_nhwc_half_double_half, .Lfunc_end33-naive_conv_ab_nonpacked_bwd_nhwc_half_double_half
                                        ; -- End function
	.set naive_conv_ab_nonpacked_bwd_nhwc_half_double_half.num_vgpr, 30
	.set naive_conv_ab_nonpacked_bwd_nhwc_half_double_half.num_agpr, 0
	.set naive_conv_ab_nonpacked_bwd_nhwc_half_double_half.numbered_sgpr, 81
	.set naive_conv_ab_nonpacked_bwd_nhwc_half_double_half.num_named_barrier, 0
	.set naive_conv_ab_nonpacked_bwd_nhwc_half_double_half.private_seg_size, 0
	.set naive_conv_ab_nonpacked_bwd_nhwc_half_double_half.uses_vcc, 1
	.set naive_conv_ab_nonpacked_bwd_nhwc_half_double_half.uses_flat_scratch, 0
	.set naive_conv_ab_nonpacked_bwd_nhwc_half_double_half.has_dyn_sized_stack, 0
	.set naive_conv_ab_nonpacked_bwd_nhwc_half_double_half.has_recursion, 0
	.set naive_conv_ab_nonpacked_bwd_nhwc_half_double_half.has_indirect_call, 0
	.section	.AMDGPU.csdata,"",@progbits
; Kernel info:
; codeLenInByte = 2460
; TotalNumSgprs: 85
; NumVgprs: 30
; ScratchSize: 0
; MemoryBound: 0
; FloatMode: 240
; IeeeMode: 1
; LDSByteSize: 0 bytes/workgroup (compile time only)
; SGPRBlocks: 10
; VGPRBlocks: 7
; NumSGPRsForWavesPerEU: 85
; NumVGPRsForWavesPerEU: 30
; Occupancy: 8
; WaveLimiterHint : 0
; COMPUTE_PGM_RSRC2:SCRATCH_EN: 0
; COMPUTE_PGM_RSRC2:USER_SGPR: 6
; COMPUTE_PGM_RSRC2:TRAP_HANDLER: 0
; COMPUTE_PGM_RSRC2:TGID_X_EN: 1
; COMPUTE_PGM_RSRC2:TGID_Y_EN: 0
; COMPUTE_PGM_RSRC2:TGID_Z_EN: 0
; COMPUTE_PGM_RSRC2:TIDIG_COMP_CNT: 0
	.text
	.protected	naive_conv_ab_packed_bwd_nhwc_ushort_double_ushort ; -- Begin function naive_conv_ab_packed_bwd_nhwc_ushort_double_ushort
	.globl	naive_conv_ab_packed_bwd_nhwc_ushort_double_ushort
	.p2align	8
	.type	naive_conv_ab_packed_bwd_nhwc_ushort_double_ushort,@function
naive_conv_ab_packed_bwd_nhwc_ushort_double_ushort: ; @naive_conv_ab_packed_bwd_nhwc_ushort_double_ushort
; %bb.0:
	s_load_dwordx16 s[8:23], s[4:5], 0xa0
	s_abs_i32 s1, s6
	s_waitcnt lgkmcnt(0)
	s_abs_i32 s0, s8
	v_cvt_f32_u32_e32 v1, s0
	s_sub_i32 s2, 0, s0
	v_rcp_iflag_f32_e32 v1, v1
	v_mul_f32_e32 v1, 0x4f7ffffe, v1
	v_cvt_u32_f32_e32 v1, v1
	v_readfirstlane_b32 s3, v1
	s_mul_i32 s2, s2, s3
	s_mul_hi_u32 s2, s3, s2
	s_add_i32 s3, s3, s2
	s_mul_hi_u32 s2, s1, s3
	s_mul_i32 s3, s2, s0
	s_sub_i32 s1, s1, s3
	s_add_i32 s7, s2, 1
	s_sub_i32 s3, s1, s0
	s_cmp_ge_u32 s1, s0
	s_cselect_b32 s2, s7, s2
	s_cselect_b32 s1, s3, s1
	s_add_i32 s3, s2, 1
	s_cmp_ge_u32 s1, s0
	s_cselect_b32 s1, s3, s2
	s_abs_i32 s0, s10
	v_cvt_f32_u32_e32 v1, s0
	s_mul_i32 s10, s23, s12
	s_mul_i32 s33, s10, s9
	v_cmp_gt_i32_e32 vcc, s33, v0
	v_rcp_iflag_f32_e32 v1, v1
	v_mul_f32_e32 v1, 0x4f7ffffe, v1
	v_cvt_u32_f32_e32 v1, v1
	v_readfirstlane_b32 s2, v1
	s_and_saveexec_b64 s[24:25], vcc
	s_cbranch_execz .LBB34_30
; %bb.1:
	s_xor_b32 s3, s6, s8
	s_ashr_i32 s3, s3, 31
	s_sub_i32 s34, 0, s0
	s_xor_b32 s1, s1, s3
	s_mul_i32 s34, s34, s2
	s_sub_i32 s1, s1, s3
	s_mul_hi_u32 s34, s2, s34
	s_abs_i32 s7, s1
	s_add_i32 s2, s2, s34
	s_mul_hi_u32 s2, s7, s2
	s_ashr_i32 s3, s1, 31
	s_mul_i32 s1, s1, s8
	s_mul_i32 s2, s2, s0
	s_sub_i32 s6, s6, s1
	s_sub_i32 s1, s7, s2
	;; [unrolled: 1-line block ×3, first 2 shown]
	s_cmp_ge_u32 s1, s0
	s_cselect_b32 s1, s2, s1
	s_sub_i32 s2, s1, s0
	s_cmp_ge_u32 s1, s0
	s_cselect_b32 s0, s2, s1
	s_xor_b32 s0, s0, s3
	s_sub_i32 s38, s0, s3
	s_ashr_i32 s39, s38, 31
	s_mul_i32 s1, s38, s8
	s_ashr_i32 s52, s10, 31
	s_ashr_i32 s2, s6, 31
	s_mul_hi_i32 s0, s38, s8
	s_add_u32 s3, s1, s6
	s_load_dwordx8 s[24:31], s[4:5], 0x0
	s_addc_u32 s0, s0, s2
	s_mul_hi_i32 s1, s10, s9
	s_mul_i32 s0, s33, s0
	s_mul_hi_u32 s2, s33, s3
	s_add_i32 s0, s2, s0
	s_mul_i32 s1, s1, s3
	s_add_i32 s1, s0, s1
	s_mul_i32 s0, s33, s3
	s_lshl_b64 s[0:1], s[0:1], 1
	s_mul_i32 s23, s23, s11
	s_waitcnt lgkmcnt(0)
	s_add_u32 s53, s24, s0
	s_addc_u32 s54, s25, s1
	s_ashr_i32 s56, s23, 31
	s_cmp_lt_i32 s21, 1
	s_cselect_b64 s[2:3], -1, 0
	s_add_i32 s19, s6, s19
	s_cmp_gt_i32 s22, 0
	s_cselect_b64 s[6:7], -1, 0
	s_cmp_gt_i32 s11, 0
	s_cselect_b64 s[8:9], -1, 0
	s_abs_i32 s57, s10
	v_cvt_f32_u32_e32 v1, s57
	v_cmp_neq_f64_e64 s[34:35], s[28:29], 1.0
	v_cmp_neq_f64_e64 s[36:37], s[30:31], 0
	s_abs_i32 s58, s12
	v_rcp_iflag_f32_e32 v1, v1
	v_cvt_f32_u32_e32 v2, s58
	s_abs_i32 s60, s16
	s_abs_i32 s61, s15
	v_mul_f32_e32 v1, 0x4f7ffffe, v1
	v_rcp_iflag_f32_e32 v2, v2
	v_cvt_u32_f32_e32 v1, v1
	s_or_b64 s[34:35], s[34:35], s[36:37]
	s_load_dwordx2 s[36:37], s[4:5], 0x20
	s_nop 0
	s_load_dword s4, s[4:5], 0xec
	s_sub_i32 s5, 0, s57
	v_mul_f32_e32 v2, 0x4f7ffffe, v2
	v_mul_lo_u32 v3, s5, v1
	v_cvt_u32_f32_e32 v2, v2
	s_waitcnt lgkmcnt(0)
	s_and_b32 s59, s4, 0xffff
	s_sub_i32 s4, 0, s58
	v_mul_hi_u32 v3, v1, v3
	v_mul_lo_u32 v4, s4, v2
	v_cvt_f32_u32_e32 v5, s60
	v_cvt_f32_u32_e32 v6, s61
	v_add_u32_e32 v15, v1, v3
	v_mul_hi_u32 v4, v2, v4
	v_rcp_iflag_f32_e32 v5, v5
	v_rcp_iflag_f32_e32 v1, v6
	s_sub_i32 s4, 0, s60
	v_add_u32_e32 v16, v2, v4
	v_mul_f32_e32 v2, 0x4f7ffffe, v5
	v_mul_f32_e32 v1, 0x4f7ffffe, v1
	v_cvt_u32_f32_e32 v2, v2
	v_cvt_u32_f32_e32 v1, v1
	s_mov_b32 s55, s13
	s_ashr_i32 s1, s11, 31
	v_mul_lo_u32 v3, s4, v2
	s_sub_i32 s4, 0, s61
	v_readfirstlane_b32 s5, v1
	s_mul_i32 s4, s4, s5
	s_mul_hi_u32 s4, s5, s4
	s_add_i32 s62, s5, s4
	s_mul_i32 s5, s14, s13
	s_mul_hi_i32 s4, s14, s13
	s_mul_i32 s13, s5, s39
	s_mul_hi_u32 s39, s5, s38
	s_mov_b32 s0, s11
	s_ashr_i32 s40, s21, 31
	s_add_i32 s13, s39, s13
	s_mul_i32 s4, s4, s38
	s_mul_i32 s42, s22, s12
	s_add_i32 s39, s13, s4
	s_mul_i32 s38, s5, s38
	s_lshl_b64 s[4:5], s[0:1], 1
	s_mul_i32 s0, s42, s40
	s_mul_hi_u32 s13, s42, s21
	s_mul_hi_i32 s43, s22, s12
	v_mul_hi_u32 v1, v2, v3
	s_add_i32 s0, s13, s0
	s_mul_i32 s13, s43, s21
	s_mul_i32 s44, s42, s21
	s_add_i32 s45, s0, s13
	s_mul_i32 s0, s44, s1
	s_mul_hi_u32 s1, s44, s11
	s_add_i32 s0, s1, s0
	s_mul_i32 s1, s45, s11
	s_ashr_i32 s25, s12, 31
	s_mov_b32 s24, s12
	s_add_i32 s1, s0, s1
	s_mul_i32 s0, s44, s11
	s_ashr_i32 s15, s15, 31
	v_add_u32_e32 v17, v2, v1
	s_lshl_b64 s[38:39], s[38:39], 1
	s_lshl_b64 s[40:41], s[0:1], 1
	;; [unrolled: 1-line block ×4, first 2 shown]
	v_mov_b32_e32 v18, 0
	s_ashr_i32 s13, s16, 31
	s_mov_b32 s16, 0x7f800000
	s_mov_b64 s[46:47], 0
	s_lshl_b64 s[48:49], s[24:25], 1
	s_branch .LBB34_3
.LBB34_2:                               ;   in Loop: Header=BB34_3 Depth=1
	v_add_u32_e32 v0, s59, v0
	v_cmp_le_i32_e32 vcc, s33, v0
	s_or_b64 s[46:47], vcc, s[46:47]
	s_andn2_b64 exec, exec, s[46:47]
	s_cbranch_execz .LBB34_30
.LBB34_3:                               ; =>This Loop Header: Depth=1
                                        ;     Child Loop BB34_8 Depth 2
                                        ;       Child Loop BB34_17 Depth 3
                                        ;         Child Loop BB34_24 Depth 4
	v_sub_u32_e32 v1, 0, v0
	v_max_i32_e32 v1, v0, v1
	v_mul_hi_u32 v2, v1, v15
	v_ashrrev_i32_e32 v4, 31, v0
	v_xor_b32_e32 v4, s52, v4
	s_mov_b64 s[0:1], -1
	v_mul_lo_u32 v3, v2, s57
	v_add_u32_e32 v5, 1, v2
	v_sub_u32_e32 v1, v1, v3
	v_cmp_le_u32_e32 vcc, s57, v1
	v_subrev_u32_e32 v3, s57, v1
	v_cndmask_b32_e32 v2, v2, v5, vcc
	v_cndmask_b32_e32 v1, v1, v3, vcc
	v_add_u32_e32 v3, 1, v2
	v_cmp_le_u32_e32 vcc, s57, v1
	v_cndmask_b32_e32 v1, v2, v3, vcc
	v_xor_b32_e32 v1, v1, v4
	v_sub_u32_e32 v19, v1, v4
	v_mul_lo_u32 v1, v19, s10
	v_sub_u32_e32 v7, v0, v1
	v_sub_u32_e32 v1, 0, v7
	v_max_i32_e32 v1, v7, v1
	v_mul_hi_u32 v2, v1, v16
	v_ashrrev_i32_e32 v8, 31, v7
	v_xor_b32_e32 v4, s25, v8
	v_mul_lo_u32 v3, v2, s58
	v_add_u32_e32 v5, 1, v2
	v_sub_u32_e32 v1, v1, v3
	v_cmp_le_u32_e32 vcc, s58, v1
	v_subrev_u32_e32 v3, s58, v1
	v_cndmask_b32_e32 v2, v2, v5, vcc
	v_cndmask_b32_e32 v1, v1, v3, vcc
	v_add_u32_e32 v3, 1, v2
	v_cmp_le_u32_e32 vcc, s58, v1
	v_cndmask_b32_e32 v1, v2, v3, vcc
	v_xor_b32_e32 v1, v1, v4
	v_sub_u32_e32 v20, v1, v4
	v_mul_lo_u32 v9, v20, s12
	s_andn2_b64 vcc, exec, s[2:3]
	v_ashrrev_i32_e32 v21, 31, v20
	v_sub_u32_e32 v1, v7, v9
	v_ashrrev_i32_e32 v2, 31, v1
	s_cbranch_vccnz .LBB34_5
; %bb.4:                                ;   in Loop: Header=BB34_3 Depth=1
	s_mov_b64 s[0:1], 0
.LBB34_5:                               ;   in Loop: Header=BB34_3 Depth=1
	v_mov_b32_e32 v3, 0
	v_mov_b32_e32 v4, 0
	s_andn2_b64 vcc, exec, s[0:1]
	s_cbranch_vccnz .LBB34_26
; %bb.6:                                ;   in Loop: Header=BB34_3 Depth=1
	v_mov_b32_e32 v3, s36
	v_mov_b32_e32 v4, s37
	v_mad_u64_u32 v[5:6], s[0:1], s4, v20, v[3:4]
	v_lshlrev_b64 v[3:4], 1, v[7:8]
	v_mul_lo_u32 v10, s5, v20
	v_mul_lo_u32 v11, s4, v21
	;; [unrolled: 1-line block ×4, first 2 shown]
	v_mad_u64_u32 v[3:4], s[0:1], s40, v20, v[3:4]
	v_add3_u32 v6, v10, v6, v11
	v_ashrrev_i32_e32 v10, 31, v9
	v_add3_u32 v4, v7, v4, v8
	v_lshlrev_b64 v[7:8], 1, v[9:10]
	v_add_u32_e32 v22, s20, v19
	v_sub_co_u32_e32 v3, vcc, v3, v7
	v_subb_co_u32_e32 v4, vcc, v4, v8, vcc
	v_mov_b32_e32 v8, s27
	v_add_co_u32_e32 v7, vcc, s26, v3
	v_addc_co_u32_e32 v8, vcc, v8, v4, vcc
	v_mov_b32_e32 v3, 0
	v_mov_b32_e32 v4, 0
	s_mov_b32 s63, 0
	s_branch .LBB34_8
.LBB34_7:                               ;   in Loop: Header=BB34_8 Depth=2
	s_add_i32 s63, s63, 1
	v_mov_b32_e32 v9, s43
	v_add_co_u32_e32 v7, vcc, s42, v7
	s_cmp_eq_u32 s63, s21
	v_addc_co_u32_e32 v8, vcc, v8, v9, vcc
	s_cbranch_scc1 .LBB34_26
.LBB34_8:                               ;   Parent Loop BB34_3 Depth=1
                                        ; =>  This Loop Header: Depth=2
                                        ;       Child Loop BB34_17 Depth 3
                                        ;         Child Loop BB34_24 Depth 4
	s_mul_i32 s0, s17, s63
	s_sub_i32 s68, s19, s0
	s_cmp_gt_i32 s68, -1
	s_cbranch_scc0 .LBB34_10
; %bb.9:                                ;   in Loop: Header=BB34_8 Depth=2
	s_abs_i32 s0, s68
	s_mul_hi_u32 s65, s0, s62
	s_mul_i32 s1, s65, s61
	s_sub_i32 s66, s0, s1
	s_ashr_i32 s64, s68, 31
	s_sub_i32 s67, s66, s61
	s_cmp_ge_u32 s66, s61
	s_cselect_b32 s0, s67, s66
	s_sub_i32 s1, s0, s61
	s_cmp_ge_u32 s0, s61
	s_cselect_b32 s0, s1, s0
	s_xor_b32 s0, s0, s64
	s_sub_i32 s0, s0, s64
	s_cmp_lg_u32 s0, 0
	s_cselect_b64 s[0:1], -1, 0
	s_cbranch_execz .LBB34_11
	s_branch .LBB34_12
.LBB34_10:                              ;   in Loop: Header=BB34_8 Depth=2
	s_mov_b64 s[0:1], 0
                                        ; implicit-def: $sgpr64
                                        ; implicit-def: $sgpr65
                                        ; implicit-def: $sgpr66
                                        ; implicit-def: $sgpr67
.LBB34_11:                              ;   in Loop: Header=BB34_8 Depth=2
	s_abs_i32 s0, s68
	s_mul_hi_u32 s65, s0, s62
	s_mul_i32 s1, s65, s61
	s_sub_i32 s66, s0, s1
	s_ashr_i32 s64, s68, 31
	s_sub_i32 s67, s66, s61
	s_mov_b64 s[0:1], -1
.LBB34_12:                              ;   in Loop: Header=BB34_8 Depth=2
	s_andn2_b64 vcc, exec, s[0:1]
	s_mov_b32 s0, 1
	s_cbranch_vccz .LBB34_14
; %bb.13:                               ;   in Loop: Header=BB34_8 Depth=2
	s_andn2_b64 vcc, exec, s[6:7]
	s_cbranch_vccz .LBB34_15
	s_branch .LBB34_7
.LBB34_14:                              ;   in Loop: Header=BB34_8 Depth=2
	s_mov_b32 s0, 0
	s_andn2_b64 vcc, exec, s[6:7]
	s_cbranch_vccnz .LBB34_7
.LBB34_15:                              ;   in Loop: Header=BB34_8 Depth=2
	s_xor_b32 s1, s64, s15
	s_add_i32 s50, s65, 1
	s_cmp_ge_u32 s66, s61
	s_cselect_b32 s50, s50, s65
	s_cselect_b32 s51, s67, s66
	s_add_i32 s64, s50, 1
	s_cmp_ge_u32 s51, s61
	s_cselect_b32 s50, s64, s50
	s_xor_b32 s50, s50, s1
	s_sub_i32 s1, s50, s1
	s_cmp_lt_i32 s1, s55
	v_mov_b32_e32 v10, v8
	s_mov_b32 s64, 0
	s_cselect_b32 s65, s0, 0
	s_mul_hi_i32 s66, s1, s14
	s_mul_i32 s67, s1, s14
	v_mov_b32_e32 v9, v7
	s_branch .LBB34_17
.LBB34_16:                              ;   in Loop: Header=BB34_17 Depth=3
	s_add_i32 s64, s64, 1
	v_mov_b32_e32 v11, s49
	v_add_co_u32_e32 v9, vcc, s48, v9
	s_cmp_eq_u32 s64, s22
	v_addc_co_u32_e32 v10, vcc, v10, v11, vcc
	s_cbranch_scc1 .LBB34_7
.LBB34_17:                              ;   Parent Loop BB34_3 Depth=1
                                        ;     Parent Loop BB34_8 Depth=2
                                        ; =>    This Loop Header: Depth=3
                                        ;         Child Loop BB34_24 Depth 4
	s_mul_i32 s0, s18, s64
	v_subrev_u32_e32 v11, s0, v22
	v_sub_u32_e32 v13, 0, v11
	v_cmp_gt_i32_e64 s[0:1], 0, v11
	v_cmp_lt_i32_e32 vcc, -1, v11
	v_ashrrev_i32_e32 v12, 31, v11
	v_max_i32_e32 v11, v11, v13
	s_and_saveexec_b64 s[50:51], vcc
	s_cbranch_execnz .LBB34_20
; %bb.18:                               ;   in Loop: Header=BB34_17 Depth=3
	s_or_b64 exec, exec, s[50:51]
	v_mov_b32_e32 v13, 1
	s_and_saveexec_b64 s[50:51], s[0:1]
	s_cbranch_execnz .LBB34_21
.LBB34_19:                              ;   in Loop: Header=BB34_17 Depth=3
	s_or_b64 exec, exec, s[50:51]
	s_andn2_b64 vcc, exec, s[8:9]
	s_cbranch_vccz .LBB34_22
	s_branch .LBB34_16
.LBB34_20:                              ;   in Loop: Header=BB34_17 Depth=3
	v_mul_hi_u32 v13, v11, v17
	s_andn2_b64 s[0:1], s[0:1], exec
	v_mul_lo_u32 v13, v13, s60
	v_sub_u32_e32 v13, v11, v13
	v_subrev_u32_e32 v14, s60, v13
	v_cmp_le_u32_e32 vcc, s60, v13
	v_cndmask_b32_e32 v13, v13, v14, vcc
	v_subrev_u32_e32 v14, s60, v13
	v_cmp_le_u32_e32 vcc, s60, v13
	v_cndmask_b32_e32 v13, v13, v14, vcc
	v_xor_b32_e32 v13, v13, v12
	v_sub_u32_e32 v13, v13, v12
	v_cmp_ne_u32_e32 vcc, 0, v13
	s_and_b64 s[68:69], vcc, exec
	s_or_b64 s[0:1], s[0:1], s[68:69]
	s_or_b64 exec, exec, s[50:51]
	v_mov_b32_e32 v13, 1
	s_and_saveexec_b64 s[50:51], s[0:1]
	s_cbranch_execz .LBB34_19
.LBB34_21:                              ;   in Loop: Header=BB34_17 Depth=3
	v_mov_b32_e32 v13, 0
	s_or_b64 exec, exec, s[50:51]
	s_andn2_b64 vcc, exec, s[8:9]
	s_cbranch_vccnz .LBB34_16
.LBB34_22:                              ;   in Loop: Header=BB34_17 Depth=3
	v_mul_hi_u32 v14, v11, v17
	v_xor_b32_e32 v12, s13, v12
	s_mov_b32 s50, s11
	v_mul_lo_u32 v23, v14, s60
	v_add_u32_e32 v24, 1, v14
	v_sub_u32_e32 v11, v11, v23
	v_cmp_le_u32_e32 vcc, s60, v11
	v_subrev_u32_e32 v23, s60, v11
	v_cndmask_b32_e32 v14, v14, v24, vcc
	v_cndmask_b32_e32 v11, v11, v23, vcc
	v_add_u32_e32 v23, 1, v14
	v_cmp_le_u32_e32 vcc, s60, v11
	v_cndmask_b32_e32 v11, v14, v23, vcc
	v_xor_b32_e32 v11, v11, v12
	v_sub_u32_e32 v11, v11, v12
	v_cmp_gt_i32_e32 vcc, s14, v11
	v_cndmask_b32_e32 v13, 0, v13, vcc
	v_ashrrev_i32_e32 v12, 31, v11
	v_mov_b32_e32 v14, s66
	v_add_co_u32_e32 v11, vcc, s67, v11
	v_addc_co_u32_e32 v12, vcc, v14, v12, vcc
	v_lshlrev_b64 v[11:12], 1, v[11:12]
	v_mov_b32_e32 v14, s39
	v_add_co_u32_e32 v11, vcc, s38, v11
	v_addc_co_u32_e32 v12, vcc, v14, v12, vcc
	v_mul_lo_u32 v14, s23, v12
	v_mul_lo_u32 v23, s56, v11
	v_mad_u64_u32 v[11:12], s[0:1], s23, v11, v[5:6]
	v_and_b32_e32 v13, s65, v13
	v_and_b32_e32 v13, 1, v13
	v_cmp_eq_u32_e32 vcc, 1, v13
	v_add3_u32 v12, v23, v12, v14
	v_mov_b32_e32 v14, v10
	v_mov_b32_e32 v13, v9
	s_branch .LBB34_24
.LBB34_23:                              ;   in Loop: Header=BB34_24 Depth=4
	s_or_b64 exec, exec, s[0:1]
	v_add_co_u32_e64 v11, s[0:1], 2, v11
	v_addc_co_u32_e64 v12, s[0:1], 0, v12, s[0:1]
	s_add_i32 s50, s50, -1
	v_mov_b32_e32 v23, s45
	v_add_co_u32_e64 v13, s[0:1], s44, v13
	s_cmp_eq_u32 s50, 0
	v_addc_co_u32_e64 v14, s[0:1], v14, v23, s[0:1]
	s_cbranch_scc1 .LBB34_16
.LBB34_24:                              ;   Parent Loop BB34_3 Depth=1
                                        ;     Parent Loop BB34_8 Depth=2
                                        ;       Parent Loop BB34_17 Depth=3
                                        ; =>      This Inner Loop Header: Depth=4
	s_and_saveexec_b64 s[0:1], vcc
	s_cbranch_execz .LBB34_23
; %bb.25:                               ;   in Loop: Header=BB34_24 Depth=4
	global_load_ushort v23, v[11:12], off
	global_load_ushort v24, v[13:14], off
	s_waitcnt vmcnt(1)
	v_lshlrev_b32_e32 v25, 16, v23
	s_waitcnt vmcnt(0)
	v_lshlrev_b32_e32 v23, 16, v24
	v_cvt_f64_f32_e32 v[23:24], v23
	v_cvt_f64_f32_e32 v[25:26], v25
	v_fma_f64 v[3:4], v[25:26], v[23:24], v[3:4]
	s_branch .LBB34_23
.LBB34_26:                              ;   in Loop: Header=BB34_3 Depth=1
	v_mad_i64_i32 v[1:2], s[0:1], v19, s10, v[1:2]
	v_mul_lo_u32 v5, v20, s25
	v_mul_lo_u32 v6, v21, s24
	v_mad_u64_u32 v[1:2], s[0:1], v20, s24, v[1:2]
	s_mov_b64 s[0:1], -1
	s_and_b64 vcc, exec, s[34:35]
	v_add3_u32 v2, v6, v2, v5
	v_lshlrev_b64 v[1:2], 1, v[1:2]
	s_cbranch_vccz .LBB34_28
; %bb.27:                               ;   in Loop: Header=BB34_3 Depth=1
	v_mov_b32_e32 v6, s54
	v_add_co_u32_e32 v5, vcc, s53, v1
	v_addc_co_u32_e32 v6, vcc, v6, v2, vcc
	global_load_ushort v7, v[5:6], off
	s_waitcnt vmcnt(0)
	v_lshlrev_b32_e32 v7, 16, v7
	v_cvt_f64_f32_e32 v[7:8], v7
	v_mul_f64 v[7:8], s[30:31], v[7:8]
	v_fma_f64 v[7:8], s[28:29], v[3:4], v[7:8]
	v_cvt_f32_f64_e32 v7, v[7:8]
	v_and_b32_e32 v8, 0x7f800000, v7
	v_cmp_ne_u32_sdwa s[0:1], v7, v18 src0_sel:WORD_0 src1_sel:DWORD
	v_cmp_eq_u32_e32 vcc, s16, v8
	s_and_b64 s[0:1], vcc, s[0:1]
	v_cndmask_b32_e64 v8, 0, 1, s[0:1]
	v_or_b32_sdwa v7, v7, v8 dst_sel:DWORD dst_unused:UNUSED_PAD src0_sel:WORD_1 src1_sel:DWORD
	global_store_short v[5:6], v7, off
	s_mov_b64 s[0:1], 0
.LBB34_28:                              ;   in Loop: Header=BB34_3 Depth=1
	s_andn2_b64 vcc, exec, s[0:1]
	s_cbranch_vccnz .LBB34_2
; %bb.29:                               ;   in Loop: Header=BB34_3 Depth=1
	v_cvt_f32_f64_e32 v3, v[3:4]
	v_mov_b32_e32 v4, s54
	v_and_b32_e32 v5, 0x7f800000, v3
	v_cmp_ne_u32_sdwa s[0:1], v3, v18 src0_sel:WORD_0 src1_sel:DWORD
	v_cmp_eq_u32_e32 vcc, s16, v5
	s_and_b64 s[0:1], vcc, s[0:1]
	v_cndmask_b32_e64 v5, 0, 1, s[0:1]
	v_add_co_u32_e32 v1, vcc, s53, v1
	v_or_b32_sdwa v3, v3, v5 dst_sel:DWORD dst_unused:UNUSED_PAD src0_sel:WORD_1 src1_sel:DWORD
	v_addc_co_u32_e32 v2, vcc, v4, v2, vcc
	global_store_short v[1:2], v3, off
	s_branch .LBB34_2
.LBB34_30:
	s_endpgm
	.section	.rodata,"a",@progbits
	.p2align	6, 0x0
	.amdhsa_kernel naive_conv_ab_packed_bwd_nhwc_ushort_double_ushort
		.amdhsa_group_segment_fixed_size 0
		.amdhsa_private_segment_fixed_size 0
		.amdhsa_kernarg_size 480
		.amdhsa_user_sgpr_count 6
		.amdhsa_user_sgpr_private_segment_buffer 1
		.amdhsa_user_sgpr_dispatch_ptr 0
		.amdhsa_user_sgpr_queue_ptr 0
		.amdhsa_user_sgpr_kernarg_segment_ptr 1
		.amdhsa_user_sgpr_dispatch_id 0
		.amdhsa_user_sgpr_flat_scratch_init 0
		.amdhsa_user_sgpr_private_segment_size 0
		.amdhsa_uses_dynamic_stack 0
		.amdhsa_system_sgpr_private_segment_wavefront_offset 0
		.amdhsa_system_sgpr_workgroup_id_x 1
		.amdhsa_system_sgpr_workgroup_id_y 0
		.amdhsa_system_sgpr_workgroup_id_z 0
		.amdhsa_system_sgpr_workgroup_info 0
		.amdhsa_system_vgpr_workitem_id 0
		.amdhsa_next_free_vgpr 27
		.amdhsa_next_free_sgpr 70
		.amdhsa_reserve_vcc 1
		.amdhsa_reserve_flat_scratch 0
		.amdhsa_float_round_mode_32 0
		.amdhsa_float_round_mode_16_64 0
		.amdhsa_float_denorm_mode_32 3
		.amdhsa_float_denorm_mode_16_64 3
		.amdhsa_dx10_clamp 1
		.amdhsa_ieee_mode 1
		.amdhsa_fp16_overflow 0
		.amdhsa_exception_fp_ieee_invalid_op 0
		.amdhsa_exception_fp_denorm_src 0
		.amdhsa_exception_fp_ieee_div_zero 0
		.amdhsa_exception_fp_ieee_overflow 0
		.amdhsa_exception_fp_ieee_underflow 0
		.amdhsa_exception_fp_ieee_inexact 0
		.amdhsa_exception_int_div_zero 0
	.end_amdhsa_kernel
	.text
.Lfunc_end34:
	.size	naive_conv_ab_packed_bwd_nhwc_ushort_double_ushort, .Lfunc_end34-naive_conv_ab_packed_bwd_nhwc_ushort_double_ushort
                                        ; -- End function
	.set naive_conv_ab_packed_bwd_nhwc_ushort_double_ushort.num_vgpr, 27
	.set naive_conv_ab_packed_bwd_nhwc_ushort_double_ushort.num_agpr, 0
	.set naive_conv_ab_packed_bwd_nhwc_ushort_double_ushort.numbered_sgpr, 70
	.set naive_conv_ab_packed_bwd_nhwc_ushort_double_ushort.num_named_barrier, 0
	.set naive_conv_ab_packed_bwd_nhwc_ushort_double_ushort.private_seg_size, 0
	.set naive_conv_ab_packed_bwd_nhwc_ushort_double_ushort.uses_vcc, 1
	.set naive_conv_ab_packed_bwd_nhwc_ushort_double_ushort.uses_flat_scratch, 0
	.set naive_conv_ab_packed_bwd_nhwc_ushort_double_ushort.has_dyn_sized_stack, 0
	.set naive_conv_ab_packed_bwd_nhwc_ushort_double_ushort.has_recursion, 0
	.set naive_conv_ab_packed_bwd_nhwc_ushort_double_ushort.has_indirect_call, 0
	.section	.AMDGPU.csdata,"",@progbits
; Kernel info:
; codeLenInByte = 2100
; TotalNumSgprs: 74
; NumVgprs: 27
; ScratchSize: 0
; MemoryBound: 0
; FloatMode: 240
; IeeeMode: 1
; LDSByteSize: 0 bytes/workgroup (compile time only)
; SGPRBlocks: 9
; VGPRBlocks: 6
; NumSGPRsForWavesPerEU: 74
; NumVGPRsForWavesPerEU: 27
; Occupancy: 9
; WaveLimiterHint : 0
; COMPUTE_PGM_RSRC2:SCRATCH_EN: 0
; COMPUTE_PGM_RSRC2:USER_SGPR: 6
; COMPUTE_PGM_RSRC2:TRAP_HANDLER: 0
; COMPUTE_PGM_RSRC2:TGID_X_EN: 1
; COMPUTE_PGM_RSRC2:TGID_Y_EN: 0
; COMPUTE_PGM_RSRC2:TGID_Z_EN: 0
; COMPUTE_PGM_RSRC2:TIDIG_COMP_CNT: 0
	.text
	.protected	naive_conv_ab_nonpacked_bwd_nhwc_ushort_double_ushort ; -- Begin function naive_conv_ab_nonpacked_bwd_nhwc_ushort_double_ushort
	.globl	naive_conv_ab_nonpacked_bwd_nhwc_ushort_double_ushort
	.p2align	8
	.type	naive_conv_ab_nonpacked_bwd_nhwc_ushort_double_ushort,@function
naive_conv_ab_nonpacked_bwd_nhwc_ushort_double_ushort: ; @naive_conv_ab_nonpacked_bwd_nhwc_ushort_double_ushort
; %bb.0:
	s_load_dwordx16 s[8:23], s[4:5], 0xa0
	s_abs_i32 s1, s6
	s_waitcnt lgkmcnt(0)
	s_abs_i32 s0, s8
	v_cvt_f32_u32_e32 v1, s0
	s_sub_i32 s2, 0, s0
	v_rcp_iflag_f32_e32 v1, v1
	v_mul_f32_e32 v1, 0x4f7ffffe, v1
	v_cvt_u32_f32_e32 v1, v1
	v_readfirstlane_b32 s3, v1
	s_mul_i32 s2, s2, s3
	s_mul_hi_u32 s2, s3, s2
	s_add_i32 s3, s3, s2
	s_mul_hi_u32 s2, s1, s3
	s_mul_i32 s3, s2, s0
	s_sub_i32 s1, s1, s3
	s_add_i32 s7, s2, 1
	s_sub_i32 s3, s1, s0
	s_cmp_ge_u32 s1, s0
	s_cselect_b32 s2, s7, s2
	s_cselect_b32 s1, s3, s1
	s_add_i32 s3, s2, 1
	s_cmp_ge_u32 s1, s0
	s_cselect_b32 s1, s3, s2
	s_abs_i32 s0, s10
	v_cvt_f32_u32_e32 v1, s0
	s_mul_i32 s10, s23, s12
	s_mul_i32 s23, s10, s9
	v_cmp_gt_i32_e32 vcc, s23, v0
	v_rcp_iflag_f32_e32 v1, v1
	v_mul_f32_e32 v1, 0x4f7ffffe, v1
	v_cvt_u32_f32_e32 v1, v1
	v_readfirstlane_b32 s2, v1
	s_and_saveexec_b64 s[24:25], vcc
	s_cbranch_execz .LBB35_30
; %bb.1:
	s_xor_b32 s3, s6, s8
	s_ashr_i32 s3, s3, 31
	s_sub_i32 s9, 0, s0
	s_xor_b32 s1, s1, s3
	s_mul_i32 s9, s9, s2
	s_sub_i32 s1, s1, s3
	s_mul_hi_u32 s9, s2, s9
	s_abs_i32 s7, s1
	s_add_i32 s2, s2, s9
	s_mul_hi_u32 s2, s7, s2
	s_ashr_i32 s3, s1, 31
	s_mul_i32 s1, s1, s8
	s_mul_i32 s2, s2, s0
	s_sub_i32 s8, s6, s1
	s_sub_i32 s1, s7, s2
	;; [unrolled: 1-line block ×3, first 2 shown]
	s_cmp_ge_u32 s1, s0
	s_cselect_b32 s1, s2, s1
	s_sub_i32 s2, s1, s0
	s_cmp_ge_u32 s1, s0
	s_load_dwordx16 s[36:51], s[4:5], 0x28
	s_load_dwordx2 s[52:53], s[4:5], 0x98
	s_cselect_b32 s0, s2, s1
	s_xor_b32 s0, s0, s3
	s_sub_i32 s54, s0, s3
	s_load_dwordx8 s[24:31], s[4:5], 0x0
	s_ashr_i32 s55, s54, 31
	s_waitcnt lgkmcnt(0)
	s_mul_i32 s0, s44, s55
	s_mul_hi_u32 s1, s44, s54
	s_ashr_i32 s2, s8, 31
	s_add_i32 s0, s1, s0
	s_mul_i32 s1, s45, s54
	s_mul_i32 s2, s42, s2
	s_mul_hi_u32 s3, s42, s8
	s_add_i32 s1, s0, s1
	s_mul_i32 s0, s44, s54
	s_add_i32 s2, s3, s2
	s_mul_i32 s3, s43, s8
	s_add_i32 s3, s2, s3
	s_lshl_b64 s[0:1], s[0:1], 1
	s_mul_i32 s2, s42, s8
	s_add_u32 s6, s24, s0
	s_addc_u32 s7, s25, s1
	s_lshl_b64 s[0:1], s[2:3], 1
	s_add_u32 s33, s6, s0
	s_addc_u32 s62, s7, s1
	s_cmp_lt_i32 s21, 1
	s_cselect_b64 s[6:7], -1, 0
	s_add_i32 s19, s8, s19
	s_cmp_gt_i32 s22, 0
	s_cselect_b64 s[8:9], -1, 0
	s_cmp_gt_i32 s11, 0
	s_cselect_b64 s[24:25], -1, 0
	s_abs_i32 s63, s15
	v_cvt_f32_u32_e32 v1, s63
	s_mul_i32 s42, s52, s55
	s_mul_hi_u32 s43, s52, s54
	s_abs_i32 s67, s10
	v_rcp_iflag_f32_e32 v1, v1
	s_abs_i32 s69, s12
	s_ashr_i32 s70, s16, 31
	s_abs_i32 s16, s16
	v_mul_f32_e32 v1, 0x4f7ffffe, v1
	v_cvt_u32_f32_e32 v1, v1
	s_add_i32 s43, s43, s42
	s_mul_i32 s42, s52, s54
	v_cvt_f32_u32_e32 v3, s69
	v_readfirstlane_b32 s52, v1
	v_cvt_f32_u32_e32 v1, s67
	v_cvt_f32_u32_e32 v5, s16
	v_rcp_iflag_f32_e32 v3, v3
	v_cmp_neq_f64_e64 s[0:1], s[28:29], 1.0
	v_rcp_iflag_f32_e32 v1, v1
	v_rcp_iflag_f32_e32 v5, v5
	v_cmp_neq_f64_e64 s[2:3], s[30:31], 0
	v_mul_f32_e32 v3, 0x4f7ffffe, v3
	v_mul_f32_e32 v1, 0x4f7ffffe, v1
	;; [unrolled: 1-line block ×3, first 2 shown]
	v_cvt_u32_f32_e32 v1, v1
	v_cvt_u32_f32_e32 v3, v3
	v_cvt_u32_f32_e32 v5, v5
	s_mul_i32 s44, s53, s54
	s_add_i32 s43, s43, s44
	s_sub_i32 s44, 0, s63
	s_mul_i32 s44, s44, s52
	s_sub_i32 s71, 0, s67
	s_sub_i32 s74, 0, s69
	;; [unrolled: 1-line block ×3, first 2 shown]
	s_mul_hi_u32 s44, s52, s44
	v_mul_lo_u32 v2, s71, v1
	v_mul_lo_u32 v4, s74, v3
	;; [unrolled: 1-line block ×3, first 2 shown]
	s_or_b64 s[34:35], s[0:1], s[2:3]
	s_load_dwordx4 s[0:3], s[4:5], 0x88
	s_load_dword s45, s[4:5], 0xec
	s_add_i32 s64, s52, s44
	s_load_dwordx8 s[52:59], s[4:5], 0x68
	s_load_dwordx2 s[72:73], s[4:5], 0x20
	v_mul_hi_u32 v2, v1, v2
	v_mul_hi_u32 v4, v3, v4
	;; [unrolled: 1-line block ×3, first 2 shown]
	s_waitcnt lgkmcnt(0)
	s_and_b32 s65, s45, 0xffff
	s_lshl_b64 s[60:61], s[42:43], 1
	s_ashr_i32 s66, s10, 31
	s_ashr_i32 s68, s12, 31
	;; [unrolled: 1-line block ×3, first 2 shown]
	s_lshl_b64 s[42:43], s[46:47], 1
	s_lshl_b64 s[4:5], s[54:55], 1
	;; [unrolled: 1-line block ×5, first 2 shown]
	s_add_u32 s50, s72, s60
	s_addc_u32 s51, s73, s61
	s_lshl_b64 s[52:53], s[58:59], 1
	s_lshl_b64 s[54:55], s[56:57], 1
	;; [unrolled: 1-line block ×4, first 2 shown]
	v_add_u32_e32 v15, v1, v2
	v_add_u32_e32 v16, v3, v4
	;; [unrolled: 1-line block ×3, first 2 shown]
	v_mov_b32_e32 v18, 0
	s_mov_b32 s71, 0x7f800000
	s_mov_b64 s[58:59], 0
	s_branch .LBB35_3
.LBB35_2:                               ;   in Loop: Header=BB35_3 Depth=1
	v_add_u32_e32 v0, s65, v0
	v_cmp_le_i32_e32 vcc, s23, v0
	s_or_b64 s[58:59], vcc, s[58:59]
	s_andn2_b64 exec, exec, s[58:59]
	s_cbranch_execz .LBB35_30
.LBB35_3:                               ; =>This Loop Header: Depth=1
                                        ;     Child Loop BB35_8 Depth 2
                                        ;       Child Loop BB35_17 Depth 3
                                        ;         Child Loop BB35_24 Depth 4
	v_sub_u32_e32 v1, 0, v0
	v_max_i32_e32 v1, v0, v1
	v_mul_hi_u32 v2, v1, v15
	v_ashrrev_i32_e32 v4, 31, v0
	v_xor_b32_e32 v4, s66, v4
	s_mov_b64 s[0:1], -1
	v_mul_lo_u32 v3, v2, s67
	v_add_u32_e32 v5, 1, v2
	v_sub_u32_e32 v1, v1, v3
	v_cmp_le_u32_e32 vcc, s67, v1
	v_subrev_u32_e32 v3, s67, v1
	v_cndmask_b32_e32 v2, v2, v5, vcc
	v_cndmask_b32_e32 v1, v1, v3, vcc
	v_add_u32_e32 v3, 1, v2
	v_cmp_le_u32_e32 vcc, s67, v1
	v_cndmask_b32_e32 v1, v2, v3, vcc
	v_xor_b32_e32 v1, v1, v4
	v_sub_u32_e32 v19, v1, v4
	v_mul_lo_u32 v1, v19, s10
	v_sub_u32_e32 v3, v0, v1
	v_sub_u32_e32 v1, 0, v3
	v_max_i32_e32 v1, v3, v1
	v_mul_hi_u32 v2, v1, v16
	v_ashrrev_i32_e32 v4, 31, v3
	v_xor_b32_e32 v6, s68, v4
	v_mul_lo_u32 v5, v2, s69
	v_add_u32_e32 v7, 1, v2
	v_sub_u32_e32 v1, v1, v5
	v_cmp_le_u32_e32 vcc, s69, v1
	v_subrev_u32_e32 v5, s69, v1
	v_cndmask_b32_e32 v2, v2, v7, vcc
	v_cndmask_b32_e32 v1, v1, v5, vcc
	v_add_u32_e32 v5, 1, v2
	v_cmp_le_u32_e32 vcc, s69, v1
	v_cndmask_b32_e32 v1, v2, v5, vcc
	v_xor_b32_e32 v1, v1, v6
	v_sub_u32_e32 v20, v1, v6
	v_mul_lo_u32 v5, v20, s12
	s_andn2_b64 vcc, exec, s[6:7]
	v_ashrrev_i32_e32 v21, 31, v20
	v_sub_u32_e32 v22, v3, v5
	v_ashrrev_i32_e32 v23, 31, v22
	s_cbranch_vccnz .LBB35_5
; %bb.4:                                ;   in Loop: Header=BB35_3 Depth=1
	s_mov_b64 s[0:1], 0
.LBB35_5:                               ;   in Loop: Header=BB35_3 Depth=1
	v_mov_b32_e32 v1, 0
	v_mov_b32_e32 v2, 0
	s_andn2_b64 vcc, exec, s[0:1]
	s_cbranch_vccnz .LBB35_26
; %bb.6:                                ;   in Loop: Header=BB35_3 Depth=1
	v_mul_lo_u32 v7, s5, v20
	v_mul_lo_u32 v8, s4, v21
	v_mad_u64_u32 v[1:2], s[0:1], s4, v20, 0
	v_ashrrev_i32_e32 v6, 31, v5
	v_sub_co_u32_e32 v3, vcc, v3, v5
	v_subb_co_u32_e32 v4, vcc, v4, v6, vcc
	v_add3_u32 v2, v2, v8, v7
	v_mad_u64_u32 v[1:2], s[0:1], s42, v3, v[1:2]
	v_mul_lo_u32 v4, s42, v4
	v_mul_lo_u32 v3, s43, v3
	;; [unrolled: 1-line block ×3, first 2 shown]
	v_mov_b32_e32 v7, s27
	v_add_co_u32_e32 v5, vcc, s26, v1
	v_add3_u32 v6, v3, v2, v4
	v_mov_b32_e32 v2, s50
	v_mov_b32_e32 v3, s51
	v_mad_u64_u32 v[3:4], s[0:1], s52, v20, v[2:3]
	v_mul_lo_u32 v2, s53, v20
	v_add_u32_e32 v24, s20, v19
	v_addc_co_u32_e32 v6, vcc, v7, v6, vcc
	v_add3_u32 v4, v2, v4, v8
	v_mov_b32_e32 v1, 0
	v_mov_b32_e32 v2, 0
	s_mov_b32 s72, 0
	s_branch .LBB35_8
.LBB35_7:                               ;   in Loop: Header=BB35_8 Depth=2
	s_add_i32 s72, s72, 1
	v_mov_b32_e32 v7, s45
	v_add_co_u32_e32 v5, vcc, s44, v5
	s_cmp_eq_u32 s72, s21
	v_addc_co_u32_e32 v6, vcc, v6, v7, vcc
	s_cbranch_scc1 .LBB35_26
.LBB35_8:                               ;   Parent Loop BB35_3 Depth=1
                                        ; =>  This Loop Header: Depth=2
                                        ;       Child Loop BB35_17 Depth 3
                                        ;         Child Loop BB35_24 Depth 4
	s_mul_i32 s0, s17, s72
	s_sub_i32 s77, s19, s0
	s_cmp_gt_i32 s77, -1
	s_cbranch_scc0 .LBB35_10
; %bb.9:                                ;   in Loop: Header=BB35_8 Depth=2
	s_abs_i32 s0, s77
	s_mul_hi_u32 s74, s0, s64
	s_mul_i32 s1, s74, s63
	s_sub_i32 s75, s0, s1
	s_ashr_i32 s73, s77, 31
	s_sub_i32 s76, s75, s63
	s_cmp_ge_u32 s75, s63
	s_cselect_b32 s0, s76, s75
	s_sub_i32 s1, s0, s63
	s_cmp_ge_u32 s0, s63
	s_cselect_b32 s0, s1, s0
	s_xor_b32 s0, s0, s73
	s_sub_i32 s0, s0, s73
	s_cmp_lg_u32 s0, 0
	s_cselect_b64 s[0:1], -1, 0
	s_cbranch_execz .LBB35_11
	s_branch .LBB35_12
.LBB35_10:                              ;   in Loop: Header=BB35_8 Depth=2
	s_mov_b64 s[0:1], 0
                                        ; implicit-def: $sgpr73
                                        ; implicit-def: $sgpr74
                                        ; implicit-def: $sgpr75
                                        ; implicit-def: $sgpr76
.LBB35_11:                              ;   in Loop: Header=BB35_8 Depth=2
	s_abs_i32 s0, s77
	s_mul_hi_u32 s74, s0, s64
	s_mul_i32 s1, s74, s63
	s_sub_i32 s75, s0, s1
	s_ashr_i32 s73, s77, 31
	s_sub_i32 s76, s75, s63
	s_mov_b64 s[0:1], -1
.LBB35_12:                              ;   in Loop: Header=BB35_8 Depth=2
	s_andn2_b64 vcc, exec, s[0:1]
	s_mov_b32 s0, 1
	s_cbranch_vccz .LBB35_14
; %bb.13:                               ;   in Loop: Header=BB35_8 Depth=2
	s_andn2_b64 vcc, exec, s[8:9]
	s_cbranch_vccz .LBB35_15
	s_branch .LBB35_7
.LBB35_14:                              ;   in Loop: Header=BB35_8 Depth=2
	s_mov_b32 s0, 0
	s_andn2_b64 vcc, exec, s[8:9]
	s_cbranch_vccnz .LBB35_7
.LBB35_15:                              ;   in Loop: Header=BB35_8 Depth=2
	s_xor_b32 s1, s73, s15
	s_add_i32 s60, s74, 1
	s_cmp_ge_u32 s75, s63
	s_cselect_b32 s60, s60, s74
	s_cselect_b32 s61, s76, s75
	s_add_i32 s73, s60, 1
	s_cmp_ge_u32 s61, s63
	s_cselect_b32 s60, s73, s60
	s_xor_b32 s60, s60, s1
	s_sub_i32 s60, s60, s1
	s_cmp_lt_i32 s60, s13
	v_mov_b32_e32 v7, s60
	s_cselect_b32 s74, s0, 0
	v_mad_u64_u32 v[7:8], s[0:1], s2, v7, v[3:4]
	s_ashr_i32 s61, s60, 31
	s_mul_i32 s0, s2, s61
	s_mul_i32 s1, s3, s60
	s_add_i32 s0, s0, s1
	v_mov_b32_e32 v10, v6
	s_mov_b32 s73, 0
	v_add_u32_e32 v8, s0, v8
	v_mov_b32_e32 v9, v5
	s_branch .LBB35_17
.LBB35_16:                              ;   in Loop: Header=BB35_17 Depth=3
	s_add_i32 s73, s73, 1
	v_mov_b32_e32 v11, s47
	v_add_co_u32_e32 v9, vcc, s46, v9
	s_cmp_eq_u32 s73, s22
	v_addc_co_u32_e32 v10, vcc, v10, v11, vcc
	s_cbranch_scc1 .LBB35_7
.LBB35_17:                              ;   Parent Loop BB35_3 Depth=1
                                        ;     Parent Loop BB35_8 Depth=2
                                        ; =>    This Loop Header: Depth=3
                                        ;         Child Loop BB35_24 Depth 4
	s_mul_i32 s0, s18, s73
	v_subrev_u32_e32 v11, s0, v24
	v_sub_u32_e32 v13, 0, v11
	v_cmp_gt_i32_e64 s[0:1], 0, v11
	v_cmp_lt_i32_e32 vcc, -1, v11
	v_ashrrev_i32_e32 v12, 31, v11
	v_max_i32_e32 v11, v11, v13
	s_and_saveexec_b64 s[60:61], vcc
	s_cbranch_execnz .LBB35_20
; %bb.18:                               ;   in Loop: Header=BB35_17 Depth=3
	s_or_b64 exec, exec, s[60:61]
	v_mov_b32_e32 v13, 1
	s_and_saveexec_b64 s[60:61], s[0:1]
	s_cbranch_execnz .LBB35_21
.LBB35_19:                              ;   in Loop: Header=BB35_17 Depth=3
	s_or_b64 exec, exec, s[60:61]
	s_andn2_b64 vcc, exec, s[24:25]
	s_cbranch_vccz .LBB35_22
	s_branch .LBB35_16
.LBB35_20:                              ;   in Loop: Header=BB35_17 Depth=3
	v_mul_hi_u32 v13, v11, v17
	s_andn2_b64 s[0:1], s[0:1], exec
	v_mul_lo_u32 v13, v13, s16
	v_sub_u32_e32 v13, v11, v13
	v_subrev_u32_e32 v14, s16, v13
	v_cmp_le_u32_e32 vcc, s16, v13
	v_cndmask_b32_e32 v13, v13, v14, vcc
	v_subrev_u32_e32 v14, s16, v13
	v_cmp_le_u32_e32 vcc, s16, v13
	v_cndmask_b32_e32 v13, v13, v14, vcc
	v_xor_b32_e32 v13, v13, v12
	v_sub_u32_e32 v13, v13, v12
	v_cmp_ne_u32_e32 vcc, 0, v13
	s_and_b64 s[76:77], vcc, exec
	s_or_b64 s[0:1], s[0:1], s[76:77]
	s_or_b64 exec, exec, s[60:61]
	v_mov_b32_e32 v13, 1
	s_and_saveexec_b64 s[60:61], s[0:1]
	s_cbranch_execz .LBB35_19
.LBB35_21:                              ;   in Loop: Header=BB35_17 Depth=3
	v_mov_b32_e32 v13, 0
	s_or_b64 exec, exec, s[60:61]
	s_andn2_b64 vcc, exec, s[24:25]
	s_cbranch_vccnz .LBB35_16
.LBB35_22:                              ;   in Loop: Header=BB35_17 Depth=3
	v_mul_hi_u32 v14, v11, v17
	v_xor_b32_e32 v12, s70, v12
	s_mov_b32 s60, s11
	v_mul_lo_u32 v25, v14, s16
	v_sub_u32_e32 v11, v11, v25
	v_cmp_le_u32_e32 vcc, s16, v11
	v_add_u32_e32 v25, 1, v14
	v_cndmask_b32_e32 v14, v14, v25, vcc
	v_subrev_u32_e32 v25, s16, v11
	v_cndmask_b32_e32 v11, v11, v25, vcc
	v_cmp_le_u32_e32 vcc, s16, v11
	v_add_u32_e32 v11, 1, v14
	v_cndmask_b32_e32 v11, v14, v11, vcc
	v_xor_b32_e32 v11, v11, v12
	v_sub_u32_e32 v11, v11, v12
	v_cmp_gt_i32_e32 vcc, s14, v11
	v_cndmask_b32_e32 v12, 0, v13, vcc
	v_and_b32_e32 v12, s74, v12
	v_and_b32_e32 v12, 1, v12
	v_cmp_eq_u32_e32 vcc, 1, v12
	v_ashrrev_i32_e32 v12, 31, v11
	v_mul_lo_u32 v13, s56, v12
	v_mul_lo_u32 v14, s57, v11
	v_mad_u64_u32 v[11:12], s[0:1], s56, v11, v[7:8]
	v_add3_u32 v12, v14, v12, v13
	v_mov_b32_e32 v14, v10
	v_mov_b32_e32 v13, v9
	s_branch .LBB35_24
.LBB35_23:                              ;   in Loop: Header=BB35_24 Depth=4
	s_or_b64 exec, exec, s[0:1]
	v_mov_b32_e32 v25, s49
	v_add_co_u32_e64 v13, s[0:1], s48, v13
	v_addc_co_u32_e64 v14, s[0:1], v14, v25, s[0:1]
	s_add_i32 s60, s60, -1
	v_mov_b32_e32 v25, s55
	v_add_co_u32_e64 v11, s[0:1], s54, v11
	s_cmp_eq_u32 s60, 0
	v_addc_co_u32_e64 v12, s[0:1], v12, v25, s[0:1]
	s_cbranch_scc1 .LBB35_16
.LBB35_24:                              ;   Parent Loop BB35_3 Depth=1
                                        ;     Parent Loop BB35_8 Depth=2
                                        ;       Parent Loop BB35_17 Depth=3
                                        ; =>      This Inner Loop Header: Depth=4
	s_and_saveexec_b64 s[0:1], vcc
	s_cbranch_execz .LBB35_23
; %bb.25:                               ;   in Loop: Header=BB35_24 Depth=4
	global_load_ushort v25, v[11:12], off
	global_load_ushort v26, v[13:14], off
	s_waitcnt vmcnt(1)
	v_lshlrev_b32_e32 v27, 16, v25
	s_waitcnt vmcnt(0)
	v_lshlrev_b32_e32 v25, 16, v26
	v_cvt_f64_f32_e32 v[25:26], v25
	v_cvt_f64_f32_e32 v[27:28], v27
	v_fma_f64 v[1:2], v[27:28], v[25:26], v[1:2]
	s_branch .LBB35_23
.LBB35_26:                              ;   in Loop: Header=BB35_3 Depth=1
	v_ashrrev_i32_e32 v5, 31, v19
	v_mul_lo_u32 v6, s41, v19
	v_mad_u64_u32 v[3:4], s[0:1], s40, v19, 0
	v_mul_lo_u32 v5, s40, v5
	s_and_b64 vcc, exec, s[34:35]
	v_add3_u32 v4, v4, v5, v6
	v_mul_lo_u32 v5, v22, s37
	v_mul_lo_u32 v6, v23, s36
	v_mad_u64_u32 v[3:4], s[0:1], v22, s36, v[3:4]
	v_add3_u32 v4, v6, v4, v5
	v_mul_lo_u32 v5, v20, s39
	v_mul_lo_u32 v6, v21, s38
	v_mad_u64_u32 v[3:4], s[0:1], v20, s38, v[3:4]
	s_mov_b64 s[0:1], -1
	v_add3_u32 v4, v6, v4, v5
	v_lshlrev_b64 v[3:4], 1, v[3:4]
	s_cbranch_vccz .LBB35_28
; %bb.27:                               ;   in Loop: Header=BB35_3 Depth=1
	v_mov_b32_e32 v6, s62
	v_add_co_u32_e32 v5, vcc, s33, v3
	v_addc_co_u32_e32 v6, vcc, v6, v4, vcc
	global_load_ushort v7, v[5:6], off
	s_waitcnt vmcnt(0)
	v_lshlrev_b32_e32 v7, 16, v7
	v_cvt_f64_f32_e32 v[7:8], v7
	v_mul_f64 v[7:8], s[30:31], v[7:8]
	v_fma_f64 v[7:8], s[28:29], v[1:2], v[7:8]
	v_cvt_f32_f64_e32 v7, v[7:8]
	v_and_b32_e32 v8, 0x7f800000, v7
	v_cmp_ne_u32_sdwa s[0:1], v7, v18 src0_sel:WORD_0 src1_sel:DWORD
	v_cmp_eq_u32_e32 vcc, s71, v8
	s_and_b64 s[0:1], vcc, s[0:1]
	v_cndmask_b32_e64 v8, 0, 1, s[0:1]
	v_or_b32_sdwa v7, v7, v8 dst_sel:DWORD dst_unused:UNUSED_PAD src0_sel:WORD_1 src1_sel:DWORD
	global_store_short v[5:6], v7, off
	s_mov_b64 s[0:1], 0
.LBB35_28:                              ;   in Loop: Header=BB35_3 Depth=1
	s_andn2_b64 vcc, exec, s[0:1]
	s_cbranch_vccnz .LBB35_2
; %bb.29:                               ;   in Loop: Header=BB35_3 Depth=1
	v_cvt_f32_f64_e32 v1, v[1:2]
	v_mov_b32_e32 v2, s62
	v_and_b32_e32 v5, 0x7f800000, v1
	v_cmp_ne_u32_sdwa s[0:1], v1, v18 src0_sel:WORD_0 src1_sel:DWORD
	v_cmp_eq_u32_e32 vcc, s71, v5
	s_and_b64 s[0:1], vcc, s[0:1]
	v_cndmask_b32_e64 v5, 0, 1, s[0:1]
	v_or_b32_sdwa v5, v1, v5 dst_sel:DWORD dst_unused:UNUSED_PAD src0_sel:WORD_1 src1_sel:DWORD
	v_add_co_u32_e32 v1, vcc, s33, v3
	v_addc_co_u32_e32 v2, vcc, v2, v4, vcc
	global_store_short v[1:2], v5, off
	s_branch .LBB35_2
.LBB35_30:
	s_endpgm
	.section	.rodata,"a",@progbits
	.p2align	6, 0x0
	.amdhsa_kernel naive_conv_ab_nonpacked_bwd_nhwc_ushort_double_ushort
		.amdhsa_group_segment_fixed_size 0
		.amdhsa_private_segment_fixed_size 0
		.amdhsa_kernarg_size 480
		.amdhsa_user_sgpr_count 6
		.amdhsa_user_sgpr_private_segment_buffer 1
		.amdhsa_user_sgpr_dispatch_ptr 0
		.amdhsa_user_sgpr_queue_ptr 0
		.amdhsa_user_sgpr_kernarg_segment_ptr 1
		.amdhsa_user_sgpr_dispatch_id 0
		.amdhsa_user_sgpr_flat_scratch_init 0
		.amdhsa_user_sgpr_private_segment_size 0
		.amdhsa_uses_dynamic_stack 0
		.amdhsa_system_sgpr_private_segment_wavefront_offset 0
		.amdhsa_system_sgpr_workgroup_id_x 1
		.amdhsa_system_sgpr_workgroup_id_y 0
		.amdhsa_system_sgpr_workgroup_id_z 0
		.amdhsa_system_sgpr_workgroup_info 0
		.amdhsa_system_vgpr_workitem_id 0
		.amdhsa_next_free_vgpr 29
		.amdhsa_next_free_sgpr 78
		.amdhsa_reserve_vcc 1
		.amdhsa_reserve_flat_scratch 0
		.amdhsa_float_round_mode_32 0
		.amdhsa_float_round_mode_16_64 0
		.amdhsa_float_denorm_mode_32 3
		.amdhsa_float_denorm_mode_16_64 3
		.amdhsa_dx10_clamp 1
		.amdhsa_ieee_mode 1
		.amdhsa_fp16_overflow 0
		.amdhsa_exception_fp_ieee_invalid_op 0
		.amdhsa_exception_fp_denorm_src 0
		.amdhsa_exception_fp_ieee_div_zero 0
		.amdhsa_exception_fp_ieee_overflow 0
		.amdhsa_exception_fp_ieee_underflow 0
		.amdhsa_exception_fp_ieee_inexact 0
		.amdhsa_exception_int_div_zero 0
	.end_amdhsa_kernel
	.text
.Lfunc_end35:
	.size	naive_conv_ab_nonpacked_bwd_nhwc_ushort_double_ushort, .Lfunc_end35-naive_conv_ab_nonpacked_bwd_nhwc_ushort_double_ushort
                                        ; -- End function
	.set naive_conv_ab_nonpacked_bwd_nhwc_ushort_double_ushort.num_vgpr, 29
	.set naive_conv_ab_nonpacked_bwd_nhwc_ushort_double_ushort.num_agpr, 0
	.set naive_conv_ab_nonpacked_bwd_nhwc_ushort_double_ushort.numbered_sgpr, 78
	.set naive_conv_ab_nonpacked_bwd_nhwc_ushort_double_ushort.num_named_barrier, 0
	.set naive_conv_ab_nonpacked_bwd_nhwc_ushort_double_ushort.private_seg_size, 0
	.set naive_conv_ab_nonpacked_bwd_nhwc_ushort_double_ushort.uses_vcc, 1
	.set naive_conv_ab_nonpacked_bwd_nhwc_ushort_double_ushort.uses_flat_scratch, 0
	.set naive_conv_ab_nonpacked_bwd_nhwc_ushort_double_ushort.has_dyn_sized_stack, 0
	.set naive_conv_ab_nonpacked_bwd_nhwc_ushort_double_ushort.has_recursion, 0
	.set naive_conv_ab_nonpacked_bwd_nhwc_ushort_double_ushort.has_indirect_call, 0
	.section	.AMDGPU.csdata,"",@progbits
; Kernel info:
; codeLenInByte = 2148
; TotalNumSgprs: 82
; NumVgprs: 29
; ScratchSize: 0
; MemoryBound: 0
; FloatMode: 240
; IeeeMode: 1
; LDSByteSize: 0 bytes/workgroup (compile time only)
; SGPRBlocks: 10
; VGPRBlocks: 7
; NumSGPRsForWavesPerEU: 82
; NumVGPRsForWavesPerEU: 29
; Occupancy: 8
; WaveLimiterHint : 0
; COMPUTE_PGM_RSRC2:SCRATCH_EN: 0
; COMPUTE_PGM_RSRC2:USER_SGPR: 6
; COMPUTE_PGM_RSRC2:TRAP_HANDLER: 0
; COMPUTE_PGM_RSRC2:TGID_X_EN: 1
; COMPUTE_PGM_RSRC2:TGID_Y_EN: 0
; COMPUTE_PGM_RSRC2:TGID_Z_EN: 0
; COMPUTE_PGM_RSRC2:TIDIG_COMP_CNT: 0
	.text
	.protected	naive_conv_ab_packed_wrw_nchw_float_double_float ; -- Begin function naive_conv_ab_packed_wrw_nchw_float_double_float
	.globl	naive_conv_ab_packed_wrw_nchw_float_double_float
	.p2align	8
	.type	naive_conv_ab_packed_wrw_nchw_float_double_float,@function
naive_conv_ab_packed_wrw_nchw_float_double_float: ; @naive_conv_ab_packed_wrw_nchw_float_double_float
; %bb.0:
	s_load_dwordx16 s[8:23], s[4:5], 0xa0
	s_waitcnt lgkmcnt(0)
	s_abs_i32 s1, s11
	v_cvt_f32_u32_e32 v1, s1
	s_mul_i32 s0, s22, s21
	s_mul_i32 s33, s0, s12
	v_cmp_gt_i32_e32 vcc, s33, v0
	v_rcp_iflag_f32_e32 v1, v1
	v_mul_f32_e32 v1, 0x4f7ffffe, v1
	v_cvt_u32_f32_e32 v1, v1
	v_readfirstlane_b32 s2, v1
	s_and_saveexec_b64 s[24:25], vcc
	s_cbranch_execz .LBB36_18
; %bb.1:
	s_sub_i32 s35, 0, s1
	s_mul_i32 s35, s35, s2
	s_mul_hi_u32 s35, s2, s35
	s_abs_i32 s34, s6
	s_add_i32 s2, s2, s35
	s_ashr_i32 s3, s6, 31
	s_ashr_i32 s7, s11, 31
	s_mul_hi_u32 s2, s34, s2
	s_xor_b32 s3, s3, s7
	s_mul_i32 s7, s2, s1
	s_sub_i32 s7, s34, s7
	s_add_i32 s34, s2, 1
	s_sub_i32 s35, s7, s1
	s_cmp_ge_u32 s7, s1
	s_cselect_b32 s2, s34, s2
	s_cselect_b32 s7, s35, s7
	s_add_i32 s34, s2, 1
	s_cmp_ge_u32 s7, s1
	s_cselect_b32 s1, s34, s2
	s_xor_b32 s1, s1, s3
	s_sub_i32 s1, s1, s3
	s_ashr_i32 s3, s12, 31
	s_mul_i32 s35, s9, s8
	s_mul_hi_i32 s34, s9, s8
	s_mul_i32 s3, s35, s3
	s_mul_hi_u32 s36, s35, s12
	s_add_i32 s3, s36, s3
	s_mul_i32 s34, s34, s12
	s_load_dwordx8 s[24:31], s[4:5], 0x0
	s_ashr_i32 s2, s1, 31
	s_add_i32 s3, s3, s34
	s_mul_i32 s34, s35, s12
	s_mul_i32 s2, s34, s2
	s_mul_hi_u32 s35, s34, s1
	s_add_i32 s2, s35, s2
	s_mul_i32 s3, s3, s1
	s_mul_i32 s7, s1, s11
	s_add_i32 s3, s2, s3
	s_mul_i32 s2, s34, s1
	s_sub_i32 s6, s6, s7
	s_ashr_i32 s40, s8, 31
	s_ashr_i32 s41, s9, 31
	s_lshl_b64 s[2:3], s[2:3], 2
	s_waitcnt lgkmcnt(0)
	s_add_u32 s42, s24, s2
	s_addc_u32 s43, s25, s3
	s_ashr_i32 s44, s21, 31
	s_ashr_i32 s45, s22, 31
	;; [unrolled: 1-line block ×3, first 2 shown]
	s_mul_hi_i32 s1, s1, s11
	s_add_u32 s36, s7, s6
	s_addc_u32 s37, s1, s2
	s_mul_i32 s2, s21, s12
	s_mul_hi_i32 s1, s21, s12
	s_mul_i32 s3, s2, s45
	s_mul_hi_u32 s6, s2, s22
	s_add_i32 s3, s6, s3
	s_mul_i32 s1, s1, s22
	s_mul_i32 s2, s2, s22
	s_add_i32 s1, s3, s1
	s_mul_i32 s3, s2, s37
	s_mul_hi_u32 s6, s2, s36
	s_add_i32 s3, s6, s3
	s_mul_i32 s1, s1, s36
	s_add_i32 s3, s3, s1
	s_mul_i32 s2, s2, s36
	s_lshl_b64 s[2:3], s[2:3], 2
	s_add_u32 s46, s26, s2
	s_addc_u32 s47, s27, s3
	s_ashr_i32 s1, s14, 31
	s_cmp_lt_i32 s10, 1
	s_cselect_b64 s[2:3], -1, 0
	s_cmp_gt_i32 s13, 0
	s_cselect_b64 s[6:7], -1, 0
	s_cmp_gt_i32 s14, 0
	s_mul_i32 s48, s23, s12
	s_mul_i32 s12, s23, s11
	s_load_dwordx2 s[34:35], s[4:5], 0x20
	s_load_dword s23, s[4:5], 0xec
	s_cselect_b64 s[4:5], -1, 0
	s_abs_i32 s51, s21
	s_abs_i32 s50, s22
	s_abs_i32 s53, s0
	v_cvt_f32_u32_e32 v2, s51
	v_cvt_f32_u32_e32 v1, s50
	;; [unrolled: 1-line block ×3, first 2 shown]
	v_cmp_neq_f64_e64 s[24:25], s[28:29], 1.0
	v_cmp_neq_f64_e64 s[26:27], s[30:31], 0
	v_rcp_iflag_f32_e32 v2, v2
	v_rcp_iflag_f32_e32 v1, v1
	;; [unrolled: 1-line block ×3, first 2 shown]
	s_mul_i32 s59, s14, s13
	v_mul_f32_e32 v2, 0x4f7ffffe, v2
	v_mul_f32_e32 v1, 0x4f7ffffe, v1
	v_cvt_u32_f32_e32 v5, v2
	v_mul_f32_e32 v2, 0x4f7ffffe, v3
	v_cvt_u32_f32_e32 v1, v1
	v_cvt_u32_f32_e32 v3, v2
	s_or_b64 s[24:25], s[24:25], s[26:27]
	s_ashr_i32 s52, s0, 31
	s_mul_i32 s0, s59, s37
	s_mul_hi_u32 s26, s59, s36
	s_mul_hi_i32 s37, s14, s13
	s_add_i32 s0, s26, s0
	s_mul_i32 s26, s37, s36
	s_waitcnt lgkmcnt(0)
	s_and_b32 s49, s23, 0xffff
	s_sub_i32 s23, 0, s50
	s_sub_i32 s39, 0, s51
	s_add_i32 s27, s0, s26
	s_sub_i32 s0, 0, s53
	v_mul_lo_u32 v4, s23, v1
	v_mul_lo_u32 v2, s39, v5
	;; [unrolled: 1-line block ×3, first 2 shown]
	s_mul_i32 s26, s59, s36
	s_ashr_i32 s11, s48, 31
	s_ashr_i32 s38, s12, 31
	s_lshl_b64 s[26:27], s[26:27], 2
	v_mul_hi_u32 v4, v1, v4
	v_mul_hi_u32 v7, v5, v2
	;; [unrolled: 1-line block ×3, first 2 shown]
	s_add_u32 s26, s34, s26
	s_mov_b32 s54, s8
	s_mul_hi_u32 s0, s59, s12
	s_mul_i32 s8, s59, s38
	s_addc_u32 s27, s35, s27
	s_add_i32 s8, s0, s8
	s_mul_i32 s37, s37, s12
	s_mov_b32 s58, s13
	s_mov_b32 s0, s14
	s_add_i32 s13, s8, s37
	s_mul_i32 s12, s59, s12
	s_mov_b32 s55, s9
	s_mov_b32 s56, s21
	;; [unrolled: 1-line block ×3, first 2 shown]
	s_mov_b64 s[8:9], 0
	v_add_u32_e32 v11, v1, v4
	v_mov_b32_e32 v2, 0
	v_add_u32_e32 v12, v5, v7
	v_add_u32_e32 v13, v3, v6
	s_lshl_b64 s[12:13], s[12:13], 2
	s_lshl_b64 s[22:23], s[0:1], 2
	s_sub_i32 s59, 0, s20
	s_branch .LBB36_3
.LBB36_2:                               ;   in Loop: Header=BB36_3 Depth=1
	v_cvt_f32_f64_e32 v1, v[3:4]
	v_add_u32_e32 v0, s49, v0
	v_cmp_le_i32_e32 vcc, s33, v0
	s_or_b64 s[8:9], vcc, s[8:9]
	global_store_dword v[5:6], v1, off
	s_andn2_b64 exec, exec, s[8:9]
	s_cbranch_execz .LBB36_18
.LBB36_3:                               ; =>This Loop Header: Depth=1
                                        ;     Child Loop BB36_8 Depth 2
                                        ;       Child Loop BB36_11 Depth 3
                                        ;         Child Loop BB36_14 Depth 4
	v_sub_u32_e32 v1, 0, v0
	v_max_i32_e32 v3, v0, v1
	v_mul_hi_u32 v1, v3, v11
	v_ashrrev_i32_e32 v5, 31, v0
	v_xor_b32_e32 v6, s45, v5
	v_xor_b32_e32 v5, s52, v5
	v_mul_lo_u32 v4, v1, s50
	v_add_u32_e32 v7, 1, v1
	s_mov_b64 s[20:21], -1
	v_sub_u32_e32 v4, v3, v4
	v_cmp_le_u32_e32 vcc, s50, v4
	v_cndmask_b32_e32 v1, v1, v7, vcc
	v_subrev_u32_e32 v7, s50, v4
	v_cndmask_b32_e32 v4, v4, v7, vcc
	v_add_u32_e32 v7, 1, v1
	v_cmp_le_u32_e32 vcc, s50, v4
	v_cndmask_b32_e32 v1, v1, v7, vcc
	v_xor_b32_e32 v1, v1, v6
	v_sub_u32_e32 v1, v1, v6
	v_sub_u32_e32 v4, 0, v1
	v_max_i32_e32 v4, v1, v4
	v_mul_hi_u32 v6, v3, v13
	v_mul_hi_u32 v7, v4, v12
	v_mul_lo_u32 v8, v6, s53
	v_mul_lo_u32 v7, v7, s51
	v_sub_u32_e32 v8, v3, v8
	v_sub_u32_e32 v3, v4, v7
	v_subrev_u32_e32 v4, s51, v3
	v_cmp_le_u32_e32 vcc, s51, v3
	v_cndmask_b32_e32 v3, v3, v4, vcc
	v_add_u32_e32 v4, 1, v6
	v_cmp_le_u32_e32 vcc, s53, v8
	v_cndmask_b32_e32 v4, v6, v4, vcc
	v_subrev_u32_e32 v6, s53, v8
	v_cndmask_b32_e32 v6, v8, v6, vcc
	v_add_u32_e32 v7, 1, v4
	v_cmp_le_u32_e32 vcc, s53, v6
	v_cndmask_b32_e32 v4, v4, v7, vcc
	v_xor_b32_e32 v4, v4, v5
	v_sub_u32_e32 v5, v4, v5
	v_cmp_le_u32_e64 s[0:1], s51, v3
	s_andn2_b64 vcc, exec, s[2:3]
	v_ashrrev_i32_e32 v6, 31, v5
	s_cbranch_vccnz .LBB36_5
; %bb.4:                                ;   in Loop: Header=BB36_3 Depth=1
	s_mov_b64 s[20:21], 0
.LBB36_5:                               ;   in Loop: Header=BB36_3 Depth=1
	v_mul_lo_u32 v4, v1, s57
	v_subrev_u32_e32 v7, s51, v3
	v_ashrrev_i32_e32 v1, 31, v1
	v_cndmask_b32_e64 v3, v3, v7, s[0:1]
	v_sub_u32_e32 v7, v0, v4
	v_xor_b32_e32 v8, v3, v1
	v_mov_b32_e32 v3, 0
	v_mov_b32_e32 v4, 0
	s_andn2_b64 vcc, exec, s[20:21]
	v_sub_u32_e32 v8, v8, v1
	s_cbranch_vccnz .LBB36_16
; %bb.6:                                ;   in Loop: Header=BB36_3 Depth=1
	v_mul_lo_u32 v1, v7, s18
	v_mul_lo_u32 v14, v8, s17
	v_mov_b32_e32 v3, 0
	v_mov_b32_e32 v4, 0
	s_mov_b32 s60, 0
	v_add_u32_e32 v15, s59, v1
	s_mov_b64 s[20:21], s[26:27]
	s_branch .LBB36_8
.LBB36_7:                               ;   in Loop: Header=BB36_8 Depth=2
	s_add_i32 s60, s60, 1
	s_add_u32 s20, s20, s12
	s_addc_u32 s21, s21, s13
	s_cmp_eq_u32 s60, s10
	s_cbranch_scc1 .LBB36_16
.LBB36_8:                               ;   Parent Loop BB36_3 Depth=1
                                        ; =>  This Loop Header: Depth=2
                                        ;       Child Loop BB36_11 Depth 3
                                        ;         Child Loop BB36_14 Depth 4
	s_andn2_b64 vcc, exec, s[6:7]
	s_cbranch_vccnz .LBB36_7
; %bb.9:                                ;   in Loop: Header=BB36_8 Depth=2
	v_mov_b32_e32 v1, s48
	v_mad_u64_u32 v[9:10], s[0:1], s60, v1, v[5:6]
	s_mul_i32 s0, s60, s11
	s_mov_b32 s61, 0
	v_add_u32_e32 v1, s0, v10
	v_mul_lo_u32 v16, v9, s40
	v_mad_u64_u32 v[9:10], s[0:1], v9, s54, 0
	v_mul_lo_u32 v1, v1, s54
	s_mov_b64 s[34:35], s[20:21]
	v_add3_u32 v10, v10, v16, v1
	s_branch .LBB36_11
.LBB36_10:                              ;   in Loop: Header=BB36_11 Depth=3
	s_add_i32 s61, s61, 1
	s_add_u32 s34, s34, s22
	s_addc_u32 s35, s35, s23
	s_cmp_eq_u32 s61, s58
	s_cbranch_scc1 .LBB36_7
.LBB36_11:                              ;   Parent Loop BB36_3 Depth=1
                                        ;     Parent Loop BB36_8 Depth=2
                                        ; =>    This Loop Header: Depth=3
                                        ;         Child Loop BB36_14 Depth 4
	s_andn2_b64 vcc, exec, s[4:5]
	s_cbranch_vccnz .LBB36_10
; %bb.12:                               ;   in Loop: Header=BB36_11 Depth=3
	s_mul_i32 s0, s61, s15
	s_sub_i32 s0, s0, s19
	v_add_u32_e32 v1, s0, v14
	v_add_co_u32_e32 v16, vcc, v9, v1
	v_addc_co_u32_e32 v17, vcc, 0, v10, vcc
	v_mul_lo_u32 v18, v17, s55
	v_mul_lo_u32 v19, v16, s41
	v_mad_u64_u32 v[16:17], s[0:1], v16, s55, 0
	v_cmp_gt_i32_e32 vcc, 0, v1
	v_cmp_le_i32_e64 s[0:1], s54, v1
	v_add3_u32 v17, v17, v19, v18
	v_lshlrev_b64 v[16:17], 2, v[16:17]
	s_or_b64 s[36:37], vcc, s[0:1]
	v_mov_b32_e32 v1, s43
	v_add_co_u32_e32 v16, vcc, s42, v16
	v_addc_co_u32_e32 v17, vcc, v1, v17, vcc
	v_mov_b32_e32 v1, v15
	s_mov_b64 s[38:39], s[34:35]
	s_mov_b32 s62, s14
	s_branch .LBB36_14
.LBB36_13:                              ;   in Loop: Header=BB36_14 Depth=4
	s_or_b64 exec, exec, s[0:1]
	s_add_i32 s62, s62, -1
	s_add_u32 s38, s38, 4
	s_addc_u32 s39, s39, 0
	s_cmp_eq_u32 s62, 0
	v_add_u32_e32 v1, s16, v1
	s_cbranch_scc1 .LBB36_10
.LBB36_14:                              ;   Parent Loop BB36_3 Depth=1
                                        ;     Parent Loop BB36_8 Depth=2
                                        ;       Parent Loop BB36_11 Depth=3
                                        ; =>      This Inner Loop Header: Depth=4
	v_cmp_gt_i32_e32 vcc, 0, v1
	v_cmp_le_i32_e64 s[0:1], s55, v1
	s_or_b64 s[0:1], vcc, s[0:1]
	s_nor_b64 s[64:65], s[36:37], s[0:1]
	s_and_saveexec_b64 s[0:1], s[64:65]
	s_cbranch_execz .LBB36_13
; %bb.15:                               ;   in Loop: Header=BB36_14 Depth=4
	v_lshlrev_b64 v[18:19], 2, v[1:2]
	s_load_dword s63, s[38:39], 0x0
	v_add_co_u32_e32 v18, vcc, v16, v18
	v_addc_co_u32_e32 v19, vcc, v17, v19, vcc
	global_load_dword v18, v[18:19], off
	s_waitcnt lgkmcnt(0)
	v_cvt_f64_f32_e32 v[20:21], s63
	s_waitcnt vmcnt(0)
	v_cvt_f64_f32_e32 v[18:19], v18
	v_fma_f64 v[3:4], v[18:19], v[20:21], v[3:4]
	s_branch .LBB36_13
.LBB36_16:                              ;   in Loop: Header=BB36_3 Depth=1
	v_ashrrev_i32_e32 v9, 31, v8
	v_mul_lo_u32 v1, v5, s44
	v_mul_lo_u32 v10, v6, s56
	v_mad_u64_u32 v[5:6], s[0:1], v5, s56, v[8:9]
	v_add3_u32 v1, v10, v6, v1
	v_mul_lo_u32 v8, v5, s45
	v_mad_u64_u32 v[5:6], s[0:1], v5, s57, 0
	v_mul_lo_u32 v1, v1, s57
	v_add3_u32 v6, v6, v8, v1
	v_lshlrev_b64 v[5:6], 2, v[5:6]
	v_ashrrev_i32_e32 v8, 31, v7
	v_mov_b32_e32 v1, s47
	v_add_co_u32_e32 v9, vcc, s46, v5
	v_addc_co_u32_e32 v1, vcc, v1, v6, vcc
	v_lshlrev_b64 v[5:6], 2, v[7:8]
	s_andn2_b64 vcc, exec, s[24:25]
	v_add_co_u32_e64 v5, s[0:1], v9, v5
	v_addc_co_u32_e64 v6, s[0:1], v1, v6, s[0:1]
	s_cbranch_vccnz .LBB36_2
; %bb.17:                               ;   in Loop: Header=BB36_3 Depth=1
	global_load_dword v1, v[5:6], off
	s_waitcnt vmcnt(0)
	v_cvt_f64_f32_e32 v[7:8], v1
	v_mul_f64 v[7:8], s[30:31], v[7:8]
	v_fma_f64 v[3:4], s[28:29], v[3:4], v[7:8]
	s_branch .LBB36_2
.LBB36_18:
	s_endpgm
	.section	.rodata,"a",@progbits
	.p2align	6, 0x0
	.amdhsa_kernel naive_conv_ab_packed_wrw_nchw_float_double_float
		.amdhsa_group_segment_fixed_size 0
		.amdhsa_private_segment_fixed_size 0
		.amdhsa_kernarg_size 480
		.amdhsa_user_sgpr_count 6
		.amdhsa_user_sgpr_private_segment_buffer 1
		.amdhsa_user_sgpr_dispatch_ptr 0
		.amdhsa_user_sgpr_queue_ptr 0
		.amdhsa_user_sgpr_kernarg_segment_ptr 1
		.amdhsa_user_sgpr_dispatch_id 0
		.amdhsa_user_sgpr_flat_scratch_init 0
		.amdhsa_user_sgpr_private_segment_size 0
		.amdhsa_uses_dynamic_stack 0
		.amdhsa_system_sgpr_private_segment_wavefront_offset 0
		.amdhsa_system_sgpr_workgroup_id_x 1
		.amdhsa_system_sgpr_workgroup_id_y 0
		.amdhsa_system_sgpr_workgroup_id_z 0
		.amdhsa_system_sgpr_workgroup_info 0
		.amdhsa_system_vgpr_workitem_id 0
		.amdhsa_next_free_vgpr 22
		.amdhsa_next_free_sgpr 66
		.amdhsa_reserve_vcc 1
		.amdhsa_reserve_flat_scratch 0
		.amdhsa_float_round_mode_32 0
		.amdhsa_float_round_mode_16_64 0
		.amdhsa_float_denorm_mode_32 3
		.amdhsa_float_denorm_mode_16_64 3
		.amdhsa_dx10_clamp 1
		.amdhsa_ieee_mode 1
		.amdhsa_fp16_overflow 0
		.amdhsa_exception_fp_ieee_invalid_op 0
		.amdhsa_exception_fp_denorm_src 0
		.amdhsa_exception_fp_ieee_div_zero 0
		.amdhsa_exception_fp_ieee_overflow 0
		.amdhsa_exception_fp_ieee_underflow 0
		.amdhsa_exception_fp_ieee_inexact 0
		.amdhsa_exception_int_div_zero 0
	.end_amdhsa_kernel
	.text
.Lfunc_end36:
	.size	naive_conv_ab_packed_wrw_nchw_float_double_float, .Lfunc_end36-naive_conv_ab_packed_wrw_nchw_float_double_float
                                        ; -- End function
	.set naive_conv_ab_packed_wrw_nchw_float_double_float.num_vgpr, 22
	.set naive_conv_ab_packed_wrw_nchw_float_double_float.num_agpr, 0
	.set naive_conv_ab_packed_wrw_nchw_float_double_float.numbered_sgpr, 66
	.set naive_conv_ab_packed_wrw_nchw_float_double_float.num_named_barrier, 0
	.set naive_conv_ab_packed_wrw_nchw_float_double_float.private_seg_size, 0
	.set naive_conv_ab_packed_wrw_nchw_float_double_float.uses_vcc, 1
	.set naive_conv_ab_packed_wrw_nchw_float_double_float.uses_flat_scratch, 0
	.set naive_conv_ab_packed_wrw_nchw_float_double_float.has_dyn_sized_stack, 0
	.set naive_conv_ab_packed_wrw_nchw_float_double_float.has_recursion, 0
	.set naive_conv_ab_packed_wrw_nchw_float_double_float.has_indirect_call, 0
	.section	.AMDGPU.csdata,"",@progbits
; Kernel info:
; codeLenInByte = 1532
; TotalNumSgprs: 70
; NumVgprs: 22
; ScratchSize: 0
; MemoryBound: 0
; FloatMode: 240
; IeeeMode: 1
; LDSByteSize: 0 bytes/workgroup (compile time only)
; SGPRBlocks: 8
; VGPRBlocks: 5
; NumSGPRsForWavesPerEU: 70
; NumVGPRsForWavesPerEU: 22
; Occupancy: 10
; WaveLimiterHint : 0
; COMPUTE_PGM_RSRC2:SCRATCH_EN: 0
; COMPUTE_PGM_RSRC2:USER_SGPR: 6
; COMPUTE_PGM_RSRC2:TRAP_HANDLER: 0
; COMPUTE_PGM_RSRC2:TGID_X_EN: 1
; COMPUTE_PGM_RSRC2:TGID_Y_EN: 0
; COMPUTE_PGM_RSRC2:TGID_Z_EN: 0
; COMPUTE_PGM_RSRC2:TIDIG_COMP_CNT: 0
	.text
	.protected	naive_conv_ab_nonpacked_wrw_nchw_float_double_float ; -- Begin function naive_conv_ab_nonpacked_wrw_nchw_float_double_float
	.globl	naive_conv_ab_nonpacked_wrw_nchw_float_double_float
	.p2align	8
	.type	naive_conv_ab_nonpacked_wrw_nchw_float_double_float,@function
naive_conv_ab_nonpacked_wrw_nchw_float_double_float: ; @naive_conv_ab_nonpacked_wrw_nchw_float_double_float
; %bb.0:
	s_load_dwordx8 s[24:31], s[4:5], 0xa0
	s_load_dwordx4 s[0:3], s[4:5], 0xd0
	s_waitcnt lgkmcnt(0)
	s_abs_i32 s33, s27
	v_cvt_f32_u32_e32 v1, s33
	s_mul_i32 s7, s2, s1
	s_mul_i32 s3, s7, s28
	v_cmp_gt_i32_e32 vcc, s3, v0
	v_rcp_iflag_f32_e32 v1, v1
	v_mul_f32_e32 v1, 0x4f7ffffe, v1
	v_cvt_u32_f32_e32 v1, v1
	v_readfirstlane_b32 s8, v1
	s_and_saveexec_b64 s[10:11], vcc
	s_cbranch_execz .LBB37_18
; %bb.1:
	s_sub_i32 s9, 0, s33
	s_mul_i32 s9, s9, s8
	s_mul_hi_u32 s9, s8, s9
	s_abs_i32 s35, s6
	s_add_i32 s8, s8, s9
	s_ashr_i32 s28, s6, 31
	s_ashr_i32 s34, s27, 31
	s_mul_hi_u32 s48, s35, s8
	s_xor_b32 s28, s28, s34
	s_mul_i32 s34, s48, s33
	s_sub_i32 s34, s35, s34
	s_add_i32 s35, s48, 1
	s_sub_i32 s49, s34, s33
	s_cmp_ge_u32 s34, s33
	s_cselect_b32 s35, s35, s48
	s_cselect_b32 s34, s49, s34
	s_add_i32 s48, s35, 1
	s_cmp_ge_u32 s34, s33
	s_load_dwordx16 s[8:23], s[4:5], 0x28
	s_load_dwordx4 s[44:47], s[4:5], 0x88
	s_cselect_b32 s33, s48, s35
	s_xor_b32 s33, s33, s28
	s_sub_i32 s33, s33, s28
	s_load_dwordx8 s[36:43], s[4:5], 0x0
	s_mul_i32 s27, s33, s27
	s_ashr_i32 s35, s33, 31
	s_sub_i32 s6, s6, s27
	s_waitcnt lgkmcnt(0)
	s_mul_i32 s27, s14, s35
	s_mul_hi_u32 s28, s14, s33
	s_add_i32 s27, s28, s27
	s_mul_i32 s15, s15, s33
	s_add_i32 s15, s27, s15
	s_mul_i32 s14, s14, s33
	s_lshl_b64 s[14:15], s[14:15], 2
	s_add_u32 s27, s36, s14
	s_addc_u32 s28, s37, s15
	s_ashr_i32 s15, s6, 31
	s_mul_i32 s52, s46, s35
	s_mul_hi_u32 s53, s46, s33
	s_mul_i32 s54, s47, s33
	s_mul_i32 s14, s46, s33
	;; [unrolled: 1-line block ×3, first 2 shown]
	s_mul_hi_u32 s56, s44, s6
	s_mul_i32 s57, s45, s6
	s_mul_i32 s34, s44, s6
	s_load_dwordx8 s[44:51], s[4:5], 0x68
	s_waitcnt lgkmcnt(0)
	s_mul_i32 s35, s46, s35
	s_mul_hi_u32 s36, s46, s33
	s_add_i32 s35, s36, s35
	s_mul_i32 s36, s47, s33
	s_add_i32 s37, s35, s36
	s_mul_i32 s36, s46, s33
	s_mul_i32 s15, s44, s15
	s_mul_hi_u32 s33, s44, s6
	s_add_i32 s15, s33, s15
	s_mul_i32 s33, s45, s6
	s_add_i32 s45, s15, s33
	s_lshl_b64 s[36:37], s[36:37], 2
	s_mul_i32 s44, s44, s6
	s_add_u32 s6, s38, s36
	s_addc_u32 s15, s39, s37
	s_lshl_b64 s[36:37], s[44:45], 2
	s_add_u32 s33, s6, s36
	s_addc_u32 s62, s15, s37
	s_load_dwordx2 s[36:37], s[4:5], 0x20
	s_add_i32 s6, s53, s52
	s_add_i32 s15, s6, s54
	;; [unrolled: 1-line block ×4, first 2 shown]
	s_lshl_b64 s[14:15], s[14:15], 2
	s_waitcnt lgkmcnt(0)
	s_add_u32 s6, s36, s14
	s_addc_u32 s36, s37, s15
	s_lshl_b64 s[14:15], s[34:35], 2
	s_add_u32 s14, s6, s14
	s_addc_u32 s15, s36, s15
	s_cmp_lt_i32 s26, 1
	s_cselect_b64 s[34:35], -1, 0
	s_cmp_gt_i32 s29, 0
	s_cselect_b64 s[36:37], -1, 0
	s_cmp_gt_i32 s30, 0
	s_cselect_b64 s[38:39], -1, 0
	s_abs_i32 s63, s2
	v_cvt_f32_u32_e32 v1, s63
	s_abs_i32 s64, s1
	v_cvt_f32_u32_e32 v2, s64
	;; [unrolled: 2-line block ×3, first 2 shown]
	v_rcp_iflag_f32_e32 v1, v1
	v_rcp_iflag_f32_e32 v2, v2
	s_load_dword s6, s[4:5], 0xec
	v_rcp_iflag_f32_e32 v3, v3
	v_mul_f32_e32 v1, 0x4f7ffffe, v1
	v_cvt_u32_f32_e32 v1, v1
	v_mul_f32_e32 v2, 0x4f7ffffe, v2
	v_cvt_u32_f32_e32 v2, v2
	v_mul_f32_e32 v3, 0x4f7ffffe, v3
	s_lshl_b64 s[44:45], s[50:51], 2
	s_lshl_b64 s[46:47], s[48:49], 2
	v_cmp_neq_f64_e64 s[48:49], s[40:41], 1.0
	v_cmp_neq_f64_e64 s[50:51], s[42:43], 0
	v_cvt_u32_f32_e32 v3, v3
	s_sub_i32 s1, 0, s63
	v_mul_lo_u32 v4, s1, v1
	s_sub_i32 s1, 0, s64
	v_mul_lo_u32 v5, s1, v2
	s_sub_i32 s1, 0, s65
	s_waitcnt lgkmcnt(0)
	s_and_b32 s66, s6, 0xffff
	s_ashr_i32 s67, s7, 31
	s_load_dwordx2 s[6:7], s[4:5], 0x98
	v_mul_lo_u32 v6, s1, v3
	s_or_b64 s[48:49], s[48:49], s[50:51]
	v_mul_hi_u32 v4, v1, v4
	v_mul_hi_u32 v7, v2, v5
	;; [unrolled: 1-line block ×3, first 2 shown]
	s_waitcnt lgkmcnt(0)
	s_lshl_b64 s[50:51], s[6:7], 2
	s_load_dwordx4 s[4:7], s[4:5], 0xc0
	v_add_u32_e32 v5, v1, v4
	v_add_u32_e32 v6, v2, v7
	;; [unrolled: 1-line block ×3, first 2 shown]
	s_ashr_i32 s68, s2, 31
	s_sub_i32 s69, 0, s0
	s_mov_b64 s[52:53], 0
	s_branch .LBB37_3
.LBB37_2:                               ;   in Loop: Header=BB37_3 Depth=1
	v_cvt_f32_f64_e32 v1, v[1:2]
	v_add_u32_e32 v0, s66, v0
	v_cmp_le_i32_e32 vcc, s3, v0
	s_or_b64 s[52:53], vcc, s[52:53]
	global_store_dword v[3:4], v1, off
	s_andn2_b64 exec, exec, s[52:53]
	s_cbranch_execz .LBB37_18
.LBB37_3:                               ; =>This Loop Header: Depth=1
                                        ;     Child Loop BB37_8 Depth 2
                                        ;       Child Loop BB37_11 Depth 3
                                        ;         Child Loop BB37_14 Depth 4
	v_sub_u32_e32 v1, 0, v0
	v_max_i32_e32 v2, v0, v1
	v_mul_hi_u32 v1, v2, v5
	v_ashrrev_i32_e32 v4, 31, v0
	v_xor_b32_e32 v8, s68, v4
	v_xor_b32_e32 v4, s67, v4
	v_mul_lo_u32 v3, v1, s63
	v_add_u32_e32 v9, 1, v1
	s_mov_b64 s[54:55], -1
	v_sub_u32_e32 v3, v2, v3
	v_cmp_le_u32_e32 vcc, s63, v3
	v_cndmask_b32_e32 v1, v1, v9, vcc
	v_subrev_u32_e32 v9, s63, v3
	v_cndmask_b32_e32 v3, v3, v9, vcc
	v_add_u32_e32 v9, 1, v1
	v_cmp_le_u32_e32 vcc, s63, v3
	v_cndmask_b32_e32 v1, v1, v9, vcc
	v_xor_b32_e32 v1, v1, v8
	v_sub_u32_e32 v1, v1, v8
	v_sub_u32_e32 v3, 0, v1
	v_max_i32_e32 v3, v1, v3
	v_mul_hi_u32 v8, v2, v7
	v_mul_hi_u32 v9, v3, v6
	v_mul_lo_u32 v10, v8, s65
	v_mul_lo_u32 v9, v9, s64
	v_sub_u32_e32 v10, v2, v10
	v_sub_u32_e32 v2, v3, v9
	v_subrev_u32_e32 v3, s64, v2
	v_cmp_le_u32_e32 vcc, s64, v2
	v_cndmask_b32_e32 v2, v2, v3, vcc
	v_add_u32_e32 v3, 1, v8
	v_cmp_le_u32_e32 vcc, s65, v10
	v_cndmask_b32_e32 v3, v8, v3, vcc
	v_subrev_u32_e32 v8, s65, v10
	v_cndmask_b32_e32 v8, v10, v8, vcc
	v_add_u32_e32 v9, 1, v3
	v_cmp_le_u32_e32 vcc, s65, v8
	v_cndmask_b32_e32 v3, v3, v9, vcc
	v_xor_b32_e32 v3, v3, v4
	v_sub_u32_e32 v3, v3, v4
	v_cmp_le_u32_e64 s[0:1], s64, v2
	s_andn2_b64 vcc, exec, s[34:35]
	v_ashrrev_i32_e32 v4, 31, v3
	s_cbranch_vccnz .LBB37_5
; %bb.4:                                ;   in Loop: Header=BB37_3 Depth=1
	s_mov_b64 s[54:55], 0
.LBB37_5:                               ;   in Loop: Header=BB37_3 Depth=1
	v_mul_lo_u32 v8, v1, s2
	v_ashrrev_i32_e32 v9, 31, v1
	v_subrev_u32_e32 v1, s64, v2
	v_cndmask_b32_e64 v1, v2, v1, s[0:1]
	v_xor_b32_e32 v10, v1, v9
	v_mov_b32_e32 v1, 0
	v_sub_u32_e32 v8, v0, v8
	v_mov_b32_e32 v2, 0
	s_andn2_b64 vcc, exec, s[54:55]
	v_sub_u32_e32 v9, v10, v9
	s_cbranch_vccnz .LBB37_16
; %bb.6:                                ;   in Loop: Header=BB37_3 Depth=1
	v_mul_lo_u32 v11, s13, v3
	v_mul_lo_u32 v12, s12, v4
	v_mad_u64_u32 v[1:2], s[0:1], s12, v3, 0
	s_waitcnt lgkmcnt(0)
	v_mul_lo_u32 v13, v8, s6
	v_mul_lo_u32 v10, v9, s5
	v_add3_u32 v2, v2, v12, v11
	v_lshlrev_b64 v[1:2], 2, v[1:2]
	v_mov_b32_e32 v12, s28
	v_add_co_u32_e32 v11, vcc, s27, v1
	v_addc_co_u32_e32 v12, vcc, v12, v2, vcc
	v_mov_b32_e32 v1, 0
	v_add_u32_e32 v13, s69, v13
	v_mov_b32_e32 v2, 0
	s_mov_b32 s70, 0
	s_mov_b64 s[54:55], s[14:15]
	s_branch .LBB37_8
.LBB37_7:                               ;   in Loop: Header=BB37_8 Depth=2
	s_add_i32 s70, s70, 1
	s_add_u32 s54, s54, s50
	s_addc_u32 s55, s55, s51
	s_cmp_eq_u32 s70, s26
	s_cbranch_scc1 .LBB37_16
.LBB37_8:                               ;   Parent Loop BB37_3 Depth=1
                                        ; =>  This Loop Header: Depth=2
                                        ;       Child Loop BB37_11 Depth 3
                                        ;         Child Loop BB37_14 Depth 4
	s_andn2_b64 vcc, exec, s[36:37]
	s_cbranch_vccnz .LBB37_7
; %bb.9:                                ;   in Loop: Header=BB37_8 Depth=2
	s_mul_i32 s0, s17, s70
	s_mul_hi_u32 s1, s16, s70
	s_add_i32 s1, s1, s0
	s_mul_i32 s0, s16, s70
	s_lshl_b64 s[0:1], s[0:1], 2
	v_mov_b32_e32 v15, s1
	v_add_co_u32_e32 v14, vcc, s0, v11
	v_addc_co_u32_e32 v15, vcc, v12, v15, vcc
	s_mov_b32 s71, 0
	s_mov_b64 s[56:57], s[54:55]
	s_branch .LBB37_11
.LBB37_10:                              ;   in Loop: Header=BB37_11 Depth=3
	s_add_i32 s71, s71, 1
	s_add_u32 s56, s56, s44
	s_addc_u32 s57, s57, s45
	s_cmp_eq_u32 s71, s29
	s_cbranch_scc1 .LBB37_7
.LBB37_11:                              ;   Parent Loop BB37_3 Depth=1
                                        ;     Parent Loop BB37_8 Depth=2
                                        ; =>    This Loop Header: Depth=3
                                        ;         Child Loop BB37_14 Depth 4
	s_andn2_b64 vcc, exec, s[38:39]
	s_cbranch_vccnz .LBB37_10
; %bb.12:                               ;   in Loop: Header=BB37_11 Depth=3
	s_mul_i32 s0, s71, s31
	s_sub_i32 s0, s0, s7
	v_add_u32_e32 v19, s0, v10
	v_mad_u64_u32 v[16:17], s[0:1], s10, v19, 0
	v_cmp_gt_i32_e32 vcc, 0, v19
	s_mov_b64 s[60:61], s[56:57]
	v_mad_u64_u32 v[17:18], s[0:1], s11, v19, v[17:18]
	v_cmp_le_i32_e64 s[0:1], s24, v19
	s_or_b64 s[58:59], vcc, s[0:1]
	v_lshlrev_b64 v[16:17], 2, v[16:17]
	v_mov_b32_e32 v18, v13
	v_add_co_u32_e32 v16, vcc, v14, v16
	v_addc_co_u32_e32 v17, vcc, v15, v17, vcc
	s_mov_b32 s72, s30
	s_branch .LBB37_14
.LBB37_13:                              ;   in Loop: Header=BB37_14 Depth=4
	s_or_b64 exec, exec, s[0:1]
	s_add_i32 s72, s72, -1
	s_add_u32 s60, s60, s46
	s_addc_u32 s61, s61, s47
	s_cmp_eq_u32 s72, 0
	v_add_u32_e32 v18, s4, v18
	s_cbranch_scc1 .LBB37_10
.LBB37_14:                              ;   Parent Loop BB37_3 Depth=1
                                        ;     Parent Loop BB37_8 Depth=2
                                        ;       Parent Loop BB37_11 Depth=3
                                        ; =>      This Inner Loop Header: Depth=4
	v_cmp_gt_i32_e32 vcc, 0, v18
	v_cmp_le_i32_e64 s[0:1], s25, v18
	s_or_b64 s[0:1], vcc, s[0:1]
	s_nor_b64 s[74:75], s[58:59], s[0:1]
	s_and_saveexec_b64 s[0:1], s[74:75]
	s_cbranch_execz .LBB37_13
; %bb.15:                               ;   in Loop: Header=BB37_14 Depth=4
	v_mad_u64_u32 v[19:20], s[74:75], s8, v18, 0
	s_load_dword s73, s[60:61], 0x0
	v_mad_u64_u32 v[20:21], s[74:75], s9, v18, v[20:21]
	s_waitcnt lgkmcnt(0)
	v_cvt_f64_f32_e32 v[21:22], s73
	v_lshlrev_b64 v[19:20], 2, v[19:20]
	v_add_co_u32_e32 v19, vcc, v16, v19
	v_addc_co_u32_e32 v20, vcc, v17, v20, vcc
	global_load_dword v19, v[19:20], off
	s_waitcnt vmcnt(0)
	v_cvt_f64_f32_e32 v[19:20], v19
	v_fma_f64 v[1:2], v[19:20], v[21:22], v[1:2]
	s_branch .LBB37_13
.LBB37_16:                              ;   in Loop: Header=BB37_3 Depth=1
	v_mul_lo_u32 v13, v4, s22
	v_mul_lo_u32 v14, v3, s23
	v_mad_u64_u32 v[3:4], s[0:1], v3, s22, 0
	v_ashrrev_i32_e32 v10, 31, v9
	v_mul_lo_u32 v15, s21, v9
	v_mul_lo_u32 v16, s20, v10
	v_mad_u64_u32 v[9:10], s[0:1], s20, v9, 0
	v_add3_u32 v4, v4, v14, v13
	v_ashrrev_i32_e32 v11, 31, v8
	v_lshlrev_b64 v[3:4], 2, v[3:4]
	v_mul_lo_u32 v17, s19, v8
	v_mul_lo_u32 v18, s18, v11
	v_mad_u64_u32 v[11:12], s[0:1], s18, v8, 0
	v_add3_u32 v10, v10, v16, v15
	v_mov_b32_e32 v8, s62
	v_add_co_u32_e32 v13, vcc, s33, v3
	v_addc_co_u32_e32 v8, vcc, v8, v4, vcc
	v_lshlrev_b64 v[3:4], 2, v[9:10]
	v_add3_u32 v12, v12, v18, v17
	v_add_co_u32_e32 v9, vcc, v13, v3
	v_addc_co_u32_e32 v8, vcc, v8, v4, vcc
	v_lshlrev_b64 v[3:4], 2, v[11:12]
	s_andn2_b64 vcc, exec, s[48:49]
	v_add_co_u32_e64 v3, s[0:1], v9, v3
	v_addc_co_u32_e64 v4, s[0:1], v8, v4, s[0:1]
	s_cbranch_vccnz .LBB37_2
; %bb.17:                               ;   in Loop: Header=BB37_3 Depth=1
	global_load_dword v8, v[3:4], off
	s_waitcnt vmcnt(0)
	v_cvt_f64_f32_e32 v[8:9], v8
	v_mul_f64 v[8:9], s[42:43], v[8:9]
	v_fma_f64 v[1:2], s[40:41], v[1:2], v[8:9]
	s_branch .LBB37_2
.LBB37_18:
	s_endpgm
	.section	.rodata,"a",@progbits
	.p2align	6, 0x0
	.amdhsa_kernel naive_conv_ab_nonpacked_wrw_nchw_float_double_float
		.amdhsa_group_segment_fixed_size 0
		.amdhsa_private_segment_fixed_size 0
		.amdhsa_kernarg_size 480
		.amdhsa_user_sgpr_count 6
		.amdhsa_user_sgpr_private_segment_buffer 1
		.amdhsa_user_sgpr_dispatch_ptr 0
		.amdhsa_user_sgpr_queue_ptr 0
		.amdhsa_user_sgpr_kernarg_segment_ptr 1
		.amdhsa_user_sgpr_dispatch_id 0
		.amdhsa_user_sgpr_flat_scratch_init 0
		.amdhsa_user_sgpr_private_segment_size 0
		.amdhsa_uses_dynamic_stack 0
		.amdhsa_system_sgpr_private_segment_wavefront_offset 0
		.amdhsa_system_sgpr_workgroup_id_x 1
		.amdhsa_system_sgpr_workgroup_id_y 0
		.amdhsa_system_sgpr_workgroup_id_z 0
		.amdhsa_system_sgpr_workgroup_info 0
		.amdhsa_system_vgpr_workitem_id 0
		.amdhsa_next_free_vgpr 23
		.amdhsa_next_free_sgpr 76
		.amdhsa_reserve_vcc 1
		.amdhsa_reserve_flat_scratch 0
		.amdhsa_float_round_mode_32 0
		.amdhsa_float_round_mode_16_64 0
		.amdhsa_float_denorm_mode_32 3
		.amdhsa_float_denorm_mode_16_64 3
		.amdhsa_dx10_clamp 1
		.amdhsa_ieee_mode 1
		.amdhsa_fp16_overflow 0
		.amdhsa_exception_fp_ieee_invalid_op 0
		.amdhsa_exception_fp_denorm_src 0
		.amdhsa_exception_fp_ieee_div_zero 0
		.amdhsa_exception_fp_ieee_overflow 0
		.amdhsa_exception_fp_ieee_underflow 0
		.amdhsa_exception_fp_ieee_inexact 0
		.amdhsa_exception_int_div_zero 0
	.end_amdhsa_kernel
	.text
.Lfunc_end37:
	.size	naive_conv_ab_nonpacked_wrw_nchw_float_double_float, .Lfunc_end37-naive_conv_ab_nonpacked_wrw_nchw_float_double_float
                                        ; -- End function
	.set naive_conv_ab_nonpacked_wrw_nchw_float_double_float.num_vgpr, 23
	.set naive_conv_ab_nonpacked_wrw_nchw_float_double_float.num_agpr, 0
	.set naive_conv_ab_nonpacked_wrw_nchw_float_double_float.numbered_sgpr, 76
	.set naive_conv_ab_nonpacked_wrw_nchw_float_double_float.num_named_barrier, 0
	.set naive_conv_ab_nonpacked_wrw_nchw_float_double_float.private_seg_size, 0
	.set naive_conv_ab_nonpacked_wrw_nchw_float_double_float.uses_vcc, 1
	.set naive_conv_ab_nonpacked_wrw_nchw_float_double_float.uses_flat_scratch, 0
	.set naive_conv_ab_nonpacked_wrw_nchw_float_double_float.has_dyn_sized_stack, 0
	.set naive_conv_ab_nonpacked_wrw_nchw_float_double_float.has_recursion, 0
	.set naive_conv_ab_nonpacked_wrw_nchw_float_double_float.has_indirect_call, 0
	.section	.AMDGPU.csdata,"",@progbits
; Kernel info:
; codeLenInByte = 1568
; TotalNumSgprs: 80
; NumVgprs: 23
; ScratchSize: 0
; MemoryBound: 0
; FloatMode: 240
; IeeeMode: 1
; LDSByteSize: 0 bytes/workgroup (compile time only)
; SGPRBlocks: 9
; VGPRBlocks: 5
; NumSGPRsForWavesPerEU: 80
; NumVGPRsForWavesPerEU: 23
; Occupancy: 10
; WaveLimiterHint : 0
; COMPUTE_PGM_RSRC2:SCRATCH_EN: 0
; COMPUTE_PGM_RSRC2:USER_SGPR: 6
; COMPUTE_PGM_RSRC2:TRAP_HANDLER: 0
; COMPUTE_PGM_RSRC2:TGID_X_EN: 1
; COMPUTE_PGM_RSRC2:TGID_Y_EN: 0
; COMPUTE_PGM_RSRC2:TGID_Z_EN: 0
; COMPUTE_PGM_RSRC2:TIDIG_COMP_CNT: 0
	.text
	.protected	naive_conv_ab_packed_wrw_nchw_half_double_half ; -- Begin function naive_conv_ab_packed_wrw_nchw_half_double_half
	.globl	naive_conv_ab_packed_wrw_nchw_half_double_half
	.p2align	8
	.type	naive_conv_ab_packed_wrw_nchw_half_double_half,@function
naive_conv_ab_packed_wrw_nchw_half_double_half: ; @naive_conv_ab_packed_wrw_nchw_half_double_half
; %bb.0:
	s_load_dwordx16 s[8:23], s[4:5], 0xa0
	s_waitcnt lgkmcnt(0)
	s_abs_i32 s1, s11
	v_cvt_f32_u32_e32 v1, s1
	s_mul_i32 s0, s22, s21
	s_mul_i32 s33, s0, s12
	v_cmp_gt_i32_e32 vcc, s33, v0
	v_rcp_iflag_f32_e32 v1, v1
	v_mul_f32_e32 v1, 0x4f7ffffe, v1
	v_cvt_u32_f32_e32 v1, v1
	v_readfirstlane_b32 s2, v1
	s_and_saveexec_b64 s[24:25], vcc
	s_cbranch_execz .LBB38_20
; %bb.1:
	s_sub_i32 s35, 0, s1
	s_mul_i32 s35, s35, s2
	s_mul_hi_u32 s35, s2, s35
	s_abs_i32 s34, s6
	s_add_i32 s2, s2, s35
	s_ashr_i32 s3, s6, 31
	s_ashr_i32 s7, s11, 31
	s_mul_hi_u32 s2, s34, s2
	s_xor_b32 s3, s3, s7
	s_mul_i32 s7, s2, s1
	s_sub_i32 s7, s34, s7
	s_add_i32 s34, s2, 1
	s_sub_i32 s35, s7, s1
	s_cmp_ge_u32 s7, s1
	s_cselect_b32 s2, s34, s2
	s_cselect_b32 s7, s35, s7
	s_add_i32 s34, s2, 1
	s_cmp_ge_u32 s7, s1
	s_cselect_b32 s1, s34, s2
	s_xor_b32 s1, s1, s3
	s_sub_i32 s1, s1, s3
	s_ashr_i32 s3, s12, 31
	s_mul_i32 s35, s9, s8
	s_mul_hi_i32 s34, s9, s8
	s_mul_i32 s3, s35, s3
	s_mul_hi_u32 s36, s35, s12
	s_add_i32 s3, s36, s3
	s_mul_i32 s34, s34, s12
	s_load_dwordx8 s[24:31], s[4:5], 0x0
	s_ashr_i32 s2, s1, 31
	s_add_i32 s3, s3, s34
	s_mul_i32 s34, s35, s12
	s_mul_i32 s2, s34, s2
	s_mul_hi_u32 s35, s34, s1
	s_add_i32 s2, s35, s2
	s_mul_i32 s3, s3, s1
	s_mul_i32 s7, s1, s11
	s_add_i32 s3, s2, s3
	s_mul_i32 s2, s34, s1
	s_sub_i32 s6, s6, s7
	s_ashr_i32 s40, s8, 31
	s_ashr_i32 s41, s9, 31
	s_lshl_b64 s[2:3], s[2:3], 1
	s_waitcnt lgkmcnt(0)
	s_add_u32 s42, s24, s2
	s_addc_u32 s43, s25, s3
	s_ashr_i32 s44, s21, 31
	s_ashr_i32 s45, s22, 31
	;; [unrolled: 1-line block ×3, first 2 shown]
	s_mul_hi_i32 s1, s1, s11
	s_add_u32 s36, s7, s6
	s_addc_u32 s37, s1, s2
	s_mul_i32 s2, s21, s12
	s_mul_hi_i32 s1, s21, s12
	s_mul_i32 s3, s2, s45
	s_mul_hi_u32 s6, s2, s22
	s_add_i32 s3, s6, s3
	s_mul_i32 s1, s1, s22
	s_mul_i32 s2, s2, s22
	s_add_i32 s1, s3, s1
	s_mul_i32 s3, s2, s37
	s_mul_hi_u32 s6, s2, s36
	s_add_i32 s3, s6, s3
	s_mul_i32 s1, s1, s36
	s_add_i32 s3, s3, s1
	s_mul_i32 s2, s2, s36
	s_lshl_b64 s[2:3], s[2:3], 1
	s_add_u32 s46, s26, s2
	s_addc_u32 s47, s27, s3
	s_ashr_i32 s1, s14, 31
	s_cmp_lt_i32 s10, 1
	s_cselect_b64 s[2:3], -1, 0
	s_cmp_gt_i32 s13, 0
	s_cselect_b64 s[6:7], -1, 0
	s_cmp_gt_i32 s14, 0
	s_mul_i32 s48, s23, s12
	s_mul_i32 s12, s23, s11
	s_load_dwordx2 s[34:35], s[4:5], 0x20
	s_load_dword s23, s[4:5], 0xec
	s_cselect_b64 s[4:5], -1, 0
	s_abs_i32 s51, s21
	s_abs_i32 s50, s22
	;; [unrolled: 1-line block ×3, first 2 shown]
	v_cvt_f32_u32_e32 v2, s51
	v_cvt_f32_u32_e32 v1, s50
	;; [unrolled: 1-line block ×3, first 2 shown]
	v_cmp_neq_f64_e64 s[24:25], s[28:29], 1.0
	v_cmp_neq_f64_e64 s[26:27], s[30:31], 0
	v_rcp_iflag_f32_e32 v2, v2
	v_rcp_iflag_f32_e32 v1, v1
	;; [unrolled: 1-line block ×3, first 2 shown]
	s_mul_i32 s59, s14, s13
	v_mul_f32_e32 v2, 0x4f7ffffe, v2
	v_mul_f32_e32 v1, 0x4f7ffffe, v1
	v_cvt_u32_f32_e32 v5, v2
	v_mul_f32_e32 v2, 0x4f7ffffe, v3
	v_cvt_u32_f32_e32 v1, v1
	v_cvt_u32_f32_e32 v3, v2
	s_or_b64 s[24:25], s[24:25], s[26:27]
	s_ashr_i32 s52, s0, 31
	s_mul_i32 s0, s59, s37
	s_mul_hi_u32 s26, s59, s36
	s_mul_hi_i32 s37, s14, s13
	s_add_i32 s0, s26, s0
	s_mul_i32 s26, s37, s36
	s_waitcnt lgkmcnt(0)
	s_and_b32 s49, s23, 0xffff
	s_sub_i32 s23, 0, s50
	s_sub_i32 s39, 0, s51
	s_add_i32 s27, s0, s26
	s_sub_i32 s0, 0, s53
	v_mul_lo_u32 v4, s23, v1
	v_mul_lo_u32 v2, s39, v5
	;; [unrolled: 1-line block ×3, first 2 shown]
	s_mul_i32 s26, s59, s36
	s_ashr_i32 s11, s48, 31
	s_ashr_i32 s38, s12, 31
	s_lshl_b64 s[26:27], s[26:27], 1
	v_mul_hi_u32 v4, v1, v4
	v_mul_hi_u32 v7, v5, v2
	;; [unrolled: 1-line block ×3, first 2 shown]
	s_add_u32 s26, s34, s26
	s_mov_b32 s54, s8
	s_mul_hi_u32 s0, s59, s12
	s_mul_i32 s8, s59, s38
	s_addc_u32 s27, s35, s27
	s_add_i32 s8, s0, s8
	s_mul_i32 s37, s37, s12
	s_mov_b32 s55, s9
	s_mov_b32 s0, s14
	s_add_i32 s9, s8, s37
	s_mul_i32 s8, s59, s12
	s_mov_b32 s56, s21
	s_mov_b32 s57, s22
	;; [unrolled: 1-line block ×3, first 2 shown]
	v_add_u32_e32 v11, v1, v4
	v_mov_b32_e32 v2, 0
	v_add_u32_e32 v12, v5, v7
	v_add_u32_e32 v13, v3, v6
	s_lshl_b64 s[8:9], s[8:9], 1
	s_lshl_b64 s[12:13], s[0:1], 1
	s_sub_i32 s59, 0, s20
	s_movk_i32 s60, 0x1ff
	s_movk_i32 s61, 0xffe
	;; [unrolled: 1-line block ×3, first 2 shown]
	v_mov_b32_e32 v14, 0x7c00
	v_mov_b32_e32 v15, 0x7e00
	s_mov_b32 s63, 0x8000
	s_mov_b64 s[20:21], 0
	s_branch .LBB38_3
.LBB38_2:                               ;   in Loop: Header=BB38_3 Depth=1
	v_add_u32_e32 v0, s49, v0
	v_cmp_le_i32_e32 vcc, s33, v0
	s_or_b64 s[20:21], vcc, s[20:21]
	s_andn2_b64 exec, exec, s[20:21]
	s_cbranch_execz .LBB38_20
.LBB38_3:                               ; =>This Loop Header: Depth=1
                                        ;     Child Loop BB38_8 Depth 2
                                        ;       Child Loop BB38_11 Depth 3
                                        ;         Child Loop BB38_14 Depth 4
	v_sub_u32_e32 v1, 0, v0
	v_max_i32_e32 v3, v0, v1
	v_mul_hi_u32 v1, v3, v11
	v_ashrrev_i32_e32 v5, 31, v0
	v_xor_b32_e32 v6, s45, v5
	v_xor_b32_e32 v5, s52, v5
	v_mul_lo_u32 v4, v1, s50
	v_add_u32_e32 v7, 1, v1
	s_mov_b64 s[22:23], -1
	v_sub_u32_e32 v4, v3, v4
	v_cmp_le_u32_e32 vcc, s50, v4
	v_cndmask_b32_e32 v1, v1, v7, vcc
	v_subrev_u32_e32 v7, s50, v4
	v_cndmask_b32_e32 v4, v4, v7, vcc
	v_add_u32_e32 v7, 1, v1
	v_cmp_le_u32_e32 vcc, s50, v4
	v_cndmask_b32_e32 v1, v1, v7, vcc
	v_xor_b32_e32 v1, v1, v6
	v_sub_u32_e32 v1, v1, v6
	v_sub_u32_e32 v4, 0, v1
	v_max_i32_e32 v4, v1, v4
	v_mul_hi_u32 v6, v3, v13
	v_mul_hi_u32 v7, v4, v12
	v_mul_lo_u32 v8, v6, s53
	v_mul_lo_u32 v7, v7, s51
	v_sub_u32_e32 v8, v3, v8
	v_sub_u32_e32 v3, v4, v7
	v_subrev_u32_e32 v4, s51, v3
	v_cmp_le_u32_e32 vcc, s51, v3
	v_cndmask_b32_e32 v3, v3, v4, vcc
	v_add_u32_e32 v4, 1, v6
	v_cmp_le_u32_e32 vcc, s53, v8
	v_cndmask_b32_e32 v4, v6, v4, vcc
	v_subrev_u32_e32 v6, s53, v8
	v_cndmask_b32_e32 v6, v8, v6, vcc
	v_add_u32_e32 v7, 1, v4
	v_cmp_le_u32_e32 vcc, s53, v6
	v_cndmask_b32_e32 v4, v4, v7, vcc
	v_xor_b32_e32 v4, v4, v5
	v_sub_u32_e32 v5, v4, v5
	v_cmp_le_u32_e64 s[0:1], s51, v3
	s_andn2_b64 vcc, exec, s[2:3]
	v_ashrrev_i32_e32 v6, 31, v5
	s_cbranch_vccnz .LBB38_5
; %bb.4:                                ;   in Loop: Header=BB38_3 Depth=1
	s_mov_b64 s[22:23], 0
.LBB38_5:                               ;   in Loop: Header=BB38_3 Depth=1
	v_mul_lo_u32 v4, v1, s57
	v_subrev_u32_e32 v7, s51, v3
	v_ashrrev_i32_e32 v1, 31, v1
	v_cndmask_b32_e64 v3, v3, v7, s[0:1]
	v_sub_u32_e32 v7, v0, v4
	v_xor_b32_e32 v8, v3, v1
	v_mov_b32_e32 v3, 0
	v_mov_b32_e32 v4, 0
	s_andn2_b64 vcc, exec, s[22:23]
	v_sub_u32_e32 v8, v8, v1
	s_cbranch_vccnz .LBB38_16
; %bb.6:                                ;   in Loop: Header=BB38_3 Depth=1
	v_mul_lo_u32 v1, v7, s18
	v_mul_lo_u32 v16, v8, s17
	v_mov_b32_e32 v3, 0
	v_mov_b32_e32 v4, 0
	s_mov_b32 s64, 0
	v_add_u32_e32 v17, s59, v1
	s_mov_b64 s[22:23], s[26:27]
	s_branch .LBB38_8
.LBB38_7:                               ;   in Loop: Header=BB38_8 Depth=2
	s_add_i32 s64, s64, 1
	s_add_u32 s22, s22, s8
	s_addc_u32 s23, s23, s9
	s_cmp_eq_u32 s64, s10
	s_cbranch_scc1 .LBB38_16
.LBB38_8:                               ;   Parent Loop BB38_3 Depth=1
                                        ; =>  This Loop Header: Depth=2
                                        ;       Child Loop BB38_11 Depth 3
                                        ;         Child Loop BB38_14 Depth 4
	s_andn2_b64 vcc, exec, s[6:7]
	s_cbranch_vccnz .LBB38_7
; %bb.9:                                ;   in Loop: Header=BB38_8 Depth=2
	v_mov_b32_e32 v1, s48
	v_mad_u64_u32 v[9:10], s[0:1], s64, v1, v[5:6]
	s_mul_i32 s0, s64, s11
	s_mov_b32 s65, 0
	v_add_u32_e32 v1, s0, v10
	v_mul_lo_u32 v18, v9, s40
	v_mad_u64_u32 v[9:10], s[0:1], v9, s54, 0
	v_mul_lo_u32 v1, v1, s54
	s_mov_b64 s[34:35], s[22:23]
	v_add3_u32 v10, v10, v18, v1
	s_branch .LBB38_11
.LBB38_10:                              ;   in Loop: Header=BB38_11 Depth=3
	s_add_i32 s65, s65, 1
	s_add_u32 s34, s34, s12
	s_addc_u32 s35, s35, s13
	s_cmp_eq_u32 s65, s58
	s_cbranch_scc1 .LBB38_7
.LBB38_11:                              ;   Parent Loop BB38_3 Depth=1
                                        ;     Parent Loop BB38_8 Depth=2
                                        ; =>    This Loop Header: Depth=3
                                        ;         Child Loop BB38_14 Depth 4
	s_andn2_b64 vcc, exec, s[4:5]
	s_cbranch_vccnz .LBB38_10
; %bb.12:                               ;   in Loop: Header=BB38_11 Depth=3
	s_mul_i32 s0, s65, s15
	s_sub_i32 s0, s0, s19
	v_add_u32_e32 v1, s0, v16
	v_add_co_u32_e32 v18, vcc, v9, v1
	v_addc_co_u32_e32 v19, vcc, 0, v10, vcc
	v_mul_lo_u32 v20, v19, s55
	v_mul_lo_u32 v21, v18, s41
	v_mad_u64_u32 v[18:19], s[0:1], v18, s55, 0
	v_cmp_gt_i32_e32 vcc, 0, v1
	v_cmp_le_i32_e64 s[0:1], s54, v1
	v_add3_u32 v19, v19, v21, v20
	v_lshlrev_b64 v[18:19], 1, v[18:19]
	s_or_b64 s[36:37], vcc, s[0:1]
	v_mov_b32_e32 v1, s43
	v_add_co_u32_e32 v18, vcc, s42, v18
	v_addc_co_u32_e32 v19, vcc, v1, v19, vcc
	v_mov_b32_e32 v1, v17
	s_mov_b64 s[38:39], s[34:35]
	s_mov_b32 s66, s14
	s_branch .LBB38_14
.LBB38_13:                              ;   in Loop: Header=BB38_14 Depth=4
	s_or_b64 exec, exec, s[0:1]
	s_add_i32 s66, s66, -1
	s_add_u32 s38, s38, 2
	s_addc_u32 s39, s39, 0
	s_cmp_eq_u32 s66, 0
	v_add_u32_e32 v1, s16, v1
	s_cbranch_scc1 .LBB38_10
.LBB38_14:                              ;   Parent Loop BB38_3 Depth=1
                                        ;     Parent Loop BB38_8 Depth=2
                                        ;       Parent Loop BB38_11 Depth=3
                                        ; =>      This Inner Loop Header: Depth=4
	v_cmp_gt_i32_e32 vcc, 0, v1
	v_cmp_le_i32_e64 s[0:1], s55, v1
	s_or_b64 s[0:1], vcc, s[0:1]
	s_nor_b64 s[68:69], s[36:37], s[0:1]
	s_and_saveexec_b64 s[0:1], s[68:69]
	s_cbranch_execz .LBB38_13
; %bb.15:                               ;   in Loop: Header=BB38_14 Depth=4
	v_lshlrev_b64 v[20:21], 1, v[1:2]
	v_add_co_u32_e32 v20, vcc, v18, v20
	v_addc_co_u32_e32 v21, vcc, v19, v21, vcc
	global_load_ushort v20, v[20:21], off
	s_nop 0
	global_load_ushort v21, v2, s[38:39]
	s_waitcnt vmcnt(1)
	v_cvt_f32_f16_e32 v20, v20
	s_waitcnt vmcnt(0)
	v_cvt_f32_f16_e32 v22, v21
	v_cvt_f64_f32_e32 v[20:21], v20
	v_cvt_f64_f32_e32 v[22:23], v22
	v_fma_f64 v[3:4], v[20:21], v[22:23], v[3:4]
	s_branch .LBB38_13
.LBB38_16:                              ;   in Loop: Header=BB38_3 Depth=1
	v_ashrrev_i32_e32 v9, 31, v8
	v_mul_lo_u32 v1, v5, s44
	v_mul_lo_u32 v10, v6, s56
	v_mad_u64_u32 v[5:6], s[0:1], v5, s56, v[8:9]
	v_ashrrev_i32_e32 v8, 31, v7
	s_and_b64 vcc, exec, s[24:25]
	v_add3_u32 v1, v10, v6, v1
	v_mul_lo_u32 v1, v1, s57
	v_mad_u64_u32 v[6:7], s[0:1], v5, s57, v[7:8]
	v_mul_lo_u32 v5, v5, s45
	s_mov_b64 s[0:1], -1
	v_add3_u32 v7, v1, v7, v5
	v_lshlrev_b64 v[5:6], 1, v[6:7]
	s_cbranch_vccz .LBB38_18
; %bb.17:                               ;   in Loop: Header=BB38_3 Depth=1
	v_mov_b32_e32 v1, s47
	v_add_co_u32_e32 v7, vcc, s46, v5
	v_addc_co_u32_e32 v8, vcc, v1, v6, vcc
	global_load_ushort v1, v[7:8], off
	s_mov_b64 s[0:1], 0
	s_waitcnt vmcnt(0)
	v_cvt_f32_f16_e32 v1, v1
	v_cvt_f64_f32_e32 v[9:10], v1
	v_mul_f64 v[9:10], s[30:31], v[9:10]
	v_fma_f64 v[9:10], s[28:29], v[3:4], v[9:10]
	v_and_or_b32 v1, v10, s60, v9
	v_cmp_ne_u32_e32 vcc, 0, v1
	v_lshrrev_b32_e32 v9, 8, v10
	v_bfe_u32 v16, v10, 20, 11
	v_cndmask_b32_e64 v1, 0, 1, vcc
	v_sub_u32_e32 v17, 0x3f1, v16
	v_and_or_b32 v1, v9, s61, v1
	v_med3_i32 v9, v17, 0, 13
	v_or_b32_e32 v17, 0x1000, v1
	v_lshrrev_b32_e32 v19, v9, v17
	v_add_u32_e32 v16, 0xfffffc10, v16
	v_cmp_ne_u32_e32 vcc, 0, v1
	v_lshlrev_b32_e32 v9, v9, v19
	v_lshl_or_b32 v18, v16, 12, v1
	v_cndmask_b32_e32 v1, v14, v15, vcc
	v_cmp_ne_u32_e32 vcc, v9, v17
	v_cndmask_b32_e64 v9, 0, 1, vcc
	v_or_b32_e32 v9, v19, v9
	v_cmp_gt_i32_e32 vcc, 1, v16
	v_cndmask_b32_e32 v9, v18, v9, vcc
	v_and_b32_e32 v17, 7, v9
	v_cmp_lt_i32_e32 vcc, 5, v17
	v_cndmask_b32_e64 v18, 0, 1, vcc
	v_cmp_eq_u32_e32 vcc, 3, v17
	v_cndmask_b32_e64 v17, 0, 1, vcc
	v_lshrrev_b32_e32 v9, 2, v9
	v_or_b32_e32 v17, v17, v18
	v_add_u32_e32 v9, v9, v17
	v_cmp_gt_i32_e32 vcc, 31, v16
	v_cndmask_b32_e32 v9, v14, v9, vcc
	v_cmp_eq_u32_e32 vcc, s62, v16
	v_lshrrev_b32_e32 v10, 16, v10
	v_cndmask_b32_e32 v1, v9, v1, vcc
	v_and_or_b32 v1, v10, s63, v1
	global_store_short v[7:8], v1, off
.LBB38_18:                              ;   in Loop: Header=BB38_3 Depth=1
	s_andn2_b64 vcc, exec, s[0:1]
	s_cbranch_vccnz .LBB38_2
; %bb.19:                               ;   in Loop: Header=BB38_3 Depth=1
	v_and_or_b32 v1, v4, s60, v3
	v_cmp_ne_u32_e32 vcc, 0, v1
	v_cndmask_b32_e64 v1, 0, 1, vcc
	v_lshrrev_b32_e32 v3, 8, v4
	v_bfe_u32 v7, v4, 20, 11
	v_and_or_b32 v1, v3, s61, v1
	v_sub_u32_e32 v8, 0x3f1, v7
	v_or_b32_e32 v3, 0x1000, v1
	v_med3_i32 v8, v8, 0, 13
	v_lshrrev_b32_e32 v9, v8, v3
	v_lshlrev_b32_e32 v8, v8, v9
	v_cmp_ne_u32_e32 vcc, v8, v3
	v_cndmask_b32_e64 v3, 0, 1, vcc
	v_add_u32_e32 v7, 0xfffffc10, v7
	v_or_b32_e32 v3, v9, v3
	v_lshl_or_b32 v8, v7, 12, v1
	v_cmp_gt_i32_e32 vcc, 1, v7
	v_cndmask_b32_e32 v3, v8, v3, vcc
	v_and_b32_e32 v8, 7, v3
	v_cmp_lt_i32_e32 vcc, 5, v8
	v_cndmask_b32_e64 v9, 0, 1, vcc
	v_cmp_eq_u32_e32 vcc, 3, v8
	v_cndmask_b32_e64 v8, 0, 1, vcc
	v_or_b32_e32 v8, v8, v9
	v_lshrrev_b32_e32 v3, 2, v3
	v_add_u32_e32 v3, v3, v8
	v_cmp_gt_i32_e32 vcc, 31, v7
	v_cndmask_b32_e32 v3, v14, v3, vcc
	v_cmp_ne_u32_e32 vcc, 0, v1
	v_cndmask_b32_e32 v1, v14, v15, vcc
	v_cmp_eq_u32_e32 vcc, s62, v7
	v_cndmask_b32_e32 v1, v3, v1, vcc
	v_lshrrev_b32_e32 v3, 16, v4
	v_and_or_b32 v1, v3, s63, v1
	v_mov_b32_e32 v4, s47
	v_add_co_u32_e32 v3, vcc, s46, v5
	v_addc_co_u32_e32 v4, vcc, v4, v6, vcc
	global_store_short v[3:4], v1, off
	s_branch .LBB38_2
.LBB38_20:
	s_endpgm
	.section	.rodata,"a",@progbits
	.p2align	6, 0x0
	.amdhsa_kernel naive_conv_ab_packed_wrw_nchw_half_double_half
		.amdhsa_group_segment_fixed_size 0
		.amdhsa_private_segment_fixed_size 0
		.amdhsa_kernarg_size 480
		.amdhsa_user_sgpr_count 6
		.amdhsa_user_sgpr_private_segment_buffer 1
		.amdhsa_user_sgpr_dispatch_ptr 0
		.amdhsa_user_sgpr_queue_ptr 0
		.amdhsa_user_sgpr_kernarg_segment_ptr 1
		.amdhsa_user_sgpr_dispatch_id 0
		.amdhsa_user_sgpr_flat_scratch_init 0
		.amdhsa_user_sgpr_private_segment_size 0
		.amdhsa_uses_dynamic_stack 0
		.amdhsa_system_sgpr_private_segment_wavefront_offset 0
		.amdhsa_system_sgpr_workgroup_id_x 1
		.amdhsa_system_sgpr_workgroup_id_y 0
		.amdhsa_system_sgpr_workgroup_id_z 0
		.amdhsa_system_sgpr_workgroup_info 0
		.amdhsa_system_vgpr_workitem_id 0
		.amdhsa_next_free_vgpr 24
		.amdhsa_next_free_sgpr 70
		.amdhsa_reserve_vcc 1
		.amdhsa_reserve_flat_scratch 0
		.amdhsa_float_round_mode_32 0
		.amdhsa_float_round_mode_16_64 0
		.amdhsa_float_denorm_mode_32 3
		.amdhsa_float_denorm_mode_16_64 3
		.amdhsa_dx10_clamp 1
		.amdhsa_ieee_mode 1
		.amdhsa_fp16_overflow 0
		.amdhsa_exception_fp_ieee_invalid_op 0
		.amdhsa_exception_fp_denorm_src 0
		.amdhsa_exception_fp_ieee_div_zero 0
		.amdhsa_exception_fp_ieee_overflow 0
		.amdhsa_exception_fp_ieee_underflow 0
		.amdhsa_exception_fp_ieee_inexact 0
		.amdhsa_exception_int_div_zero 0
	.end_amdhsa_kernel
	.text
.Lfunc_end38:
	.size	naive_conv_ab_packed_wrw_nchw_half_double_half, .Lfunc_end38-naive_conv_ab_packed_wrw_nchw_half_double_half
                                        ; -- End function
	.set naive_conv_ab_packed_wrw_nchw_half_double_half.num_vgpr, 24
	.set naive_conv_ab_packed_wrw_nchw_half_double_half.num_agpr, 0
	.set naive_conv_ab_packed_wrw_nchw_half_double_half.numbered_sgpr, 70
	.set naive_conv_ab_packed_wrw_nchw_half_double_half.num_named_barrier, 0
	.set naive_conv_ab_packed_wrw_nchw_half_double_half.private_seg_size, 0
	.set naive_conv_ab_packed_wrw_nchw_half_double_half.uses_vcc, 1
	.set naive_conv_ab_packed_wrw_nchw_half_double_half.uses_flat_scratch, 0
	.set naive_conv_ab_packed_wrw_nchw_half_double_half.has_dyn_sized_stack, 0
	.set naive_conv_ab_packed_wrw_nchw_half_double_half.has_recursion, 0
	.set naive_conv_ab_packed_wrw_nchw_half_double_half.has_indirect_call, 0
	.section	.AMDGPU.csdata,"",@progbits
; Kernel info:
; codeLenInByte = 1968
; TotalNumSgprs: 74
; NumVgprs: 24
; ScratchSize: 0
; MemoryBound: 0
; FloatMode: 240
; IeeeMode: 1
; LDSByteSize: 0 bytes/workgroup (compile time only)
; SGPRBlocks: 9
; VGPRBlocks: 5
; NumSGPRsForWavesPerEU: 74
; NumVGPRsForWavesPerEU: 24
; Occupancy: 10
; WaveLimiterHint : 0
; COMPUTE_PGM_RSRC2:SCRATCH_EN: 0
; COMPUTE_PGM_RSRC2:USER_SGPR: 6
; COMPUTE_PGM_RSRC2:TRAP_HANDLER: 0
; COMPUTE_PGM_RSRC2:TGID_X_EN: 1
; COMPUTE_PGM_RSRC2:TGID_Y_EN: 0
; COMPUTE_PGM_RSRC2:TGID_Z_EN: 0
; COMPUTE_PGM_RSRC2:TIDIG_COMP_CNT: 0
	.text
	.protected	naive_conv_ab_nonpacked_wrw_nchw_half_double_half ; -- Begin function naive_conv_ab_nonpacked_wrw_nchw_half_double_half
	.globl	naive_conv_ab_nonpacked_wrw_nchw_half_double_half
	.p2align	8
	.type	naive_conv_ab_nonpacked_wrw_nchw_half_double_half,@function
naive_conv_ab_nonpacked_wrw_nchw_half_double_half: ; @naive_conv_ab_nonpacked_wrw_nchw_half_double_half
; %bb.0:
	s_load_dwordx8 s[24:31], s[4:5], 0xa0
	s_load_dwordx4 s[0:3], s[4:5], 0xd0
	s_waitcnt lgkmcnt(0)
	s_abs_i32 s7, s27
	v_cvt_f32_u32_e32 v1, s7
	s_mul_i32 s50, s2, s1
	s_mul_i32 s3, s50, s28
	v_cmp_gt_i32_e32 vcc, s3, v0
	v_rcp_iflag_f32_e32 v1, v1
	v_mul_f32_e32 v1, 0x4f7ffffe, v1
	v_cvt_u32_f32_e32 v1, v1
	v_readfirstlane_b32 s8, v1
	s_and_saveexec_b64 s[10:11], vcc
	s_cbranch_execz .LBB39_20
; %bb.1:
	s_sub_i32 s9, 0, s7
	s_mul_i32 s9, s9, s8
	s_mul_hi_u32 s9, s8, s9
	s_abs_i32 s34, s6
	s_add_i32 s8, s8, s9
	s_ashr_i32 s28, s6, 31
	s_ashr_i32 s33, s27, 31
	s_mul_hi_u32 s35, s34, s8
	s_xor_b32 s28, s28, s33
	s_mul_i32 s33, s35, s7
	s_sub_i32 s33, s34, s33
	s_add_i32 s34, s35, 1
	s_sub_i32 s48, s33, s7
	s_cmp_ge_u32 s33, s7
	s_cselect_b32 s34, s34, s35
	s_cselect_b32 s33, s48, s33
	s_add_i32 s35, s34, 1
	s_cmp_ge_u32 s33, s7
	s_load_dwordx16 s[8:23], s[4:5], 0x28
	s_load_dwordx4 s[44:47], s[4:5], 0x88
	s_cselect_b32 s7, s35, s34
	s_xor_b32 s7, s7, s28
	s_sub_i32 s33, s7, s28
	s_load_dwordx8 s[36:43], s[4:5], 0x0
	s_mul_i32 s7, s33, s27
	s_ashr_i32 s34, s33, 31
	s_load_dwordx8 s[52:59], s[4:5], 0x68
	s_sub_i32 s48, s6, s7
	s_waitcnt lgkmcnt(0)
	s_mul_i32 s6, s14, s34
	s_mul_hi_u32 s7, s14, s33
	s_add_i32 s6, s7, s6
	s_mul_i32 s7, s15, s33
	s_add_i32 s7, s6, s7
	s_mul_i32 s6, s14, s33
	s_lshl_b64 s[6:7], s[6:7], 1
	s_add_u32 s27, s36, s6
	s_mul_i32 s15, s46, s34
	s_mul_i32 s34, s54, s34
	s_mul_hi_u32 s35, s54, s33
	s_addc_u32 s28, s37, s7
	s_ashr_i32 s7, s48, 31
	s_add_i32 s34, s35, s34
	s_mul_i32 s35, s55, s33
	s_mul_hi_u32 s49, s46, s33
	s_mul_i32 s47, s47, s33
	s_mul_i32 s6, s46, s33
	;; [unrolled: 1-line block ×3, first 2 shown]
	s_add_i32 s35, s34, s35
	s_mul_i32 s34, s54, s33
	s_mul_i32 s7, s52, s7
	s_mul_hi_u32 s33, s52, s48
	s_add_i32 s7, s33, s7
	s_mul_i32 s33, s53, s48
	s_add_i32 s37, s7, s33
	s_lshl_b64 s[34:35], s[34:35], 1
	s_mul_i32 s36, s52, s48
	s_add_u32 s7, s38, s34
	s_addc_u32 s38, s39, s35
	s_lshl_b64 s[34:35], s[36:37], 1
	s_add_u32 s33, s7, s34
	s_load_dwordx2 s[60:61], s[4:5], 0x98
	s_addc_u32 s62, s38, s35
	s_load_dwordx2 s[34:35], s[4:5], 0x20
	s_mul_hi_u32 s51, s44, s48
	s_add_i32 s7, s49, s15
	s_mul_i32 s45, s45, s48
	s_add_i32 s7, s7, s47
	s_add_i32 s15, s51, s46
	;; [unrolled: 1-line block ×3, first 2 shown]
	s_lshl_b64 s[6:7], s[6:7], 1
	s_mul_i32 s14, s44, s48
	s_waitcnt lgkmcnt(0)
	s_add_u32 s34, s34, s6
	s_addc_u32 s35, s35, s7
	s_lshl_b64 s[6:7], s[14:15], 1
	s_add_u32 s14, s34, s6
	s_addc_u32 s15, s35, s7
	s_cmp_lt_i32 s26, 1
	s_cselect_b64 s[34:35], -1, 0
	s_cmp_gt_i32 s29, 0
	s_cselect_b64 s[36:37], -1, 0
	s_cmp_gt_i32 s30, 0
	s_cselect_b64 s[38:39], -1, 0
	s_abs_i32 s63, s2
	v_cvt_f32_u32_e32 v1, s63
	s_abs_i32 s64, s1
	v_cvt_f32_u32_e32 v2, s64
	s_abs_i32 s65, s50
	v_rcp_iflag_f32_e32 v1, v1
	v_cvt_f32_u32_e32 v5, s65
	v_rcp_iflag_f32_e32 v2, v2
	s_sub_i32 s1, 0, s63
	v_mul_f32_e32 v1, 0x4f7ffffe, v1
	v_rcp_iflag_f32_e32 v5, v5
	v_cvt_u32_f32_e32 v1, v1
	v_mul_f32_e32 v2, 0x4f7ffffe, v2
	v_cvt_u32_f32_e32 v2, v2
	v_mul_f32_e32 v5, 0x4f7ffffe, v5
	v_cmp_neq_f64_e64 s[6:7], s[40:41], 1.0
	v_cmp_neq_f64_e64 s[48:49], s[42:43], 0
	v_mul_lo_u32 v3, s1, v1
	v_cvt_u32_f32_e32 v8, v5
	s_sub_i32 s1, 0, s64
	v_mul_lo_u32 v4, s1, v2
	s_sub_i32 s1, 0, s65
	v_mul_lo_u32 v6, s1, v8
	v_mul_hi_u32 v3, v1, v3
	s_or_b64 s[48:49], s[6:7], s[48:49]
	s_load_dword s1, s[4:5], 0xec
	s_nop 0
	s_load_dwordx4 s[4:7], s[4:5], 0xc0
	v_mul_hi_u32 v4, v2, v4
	v_add_u32_e32 v5, v1, v3
	v_mul_hi_u32 v1, v8, v6
	s_lshl_b64 s[44:45], s[58:59], 1
	s_lshl_b64 s[46:47], s[56:57], 1
	s_waitcnt lgkmcnt(0)
	s_and_b32 s66, s1, 0xffff
	v_mov_b32_e32 v6, 0
	v_add_u32_e32 v7, v2, v4
	s_ashr_i32 s67, s50, 31
	v_add_u32_e32 v8, v8, v1
	s_lshl_b64 s[50:51], s[60:61], 1
	v_mov_b32_e32 v9, 0x7c00
	v_mov_b32_e32 v10, 0x7e00
	s_ashr_i32 s68, s2, 31
	s_sub_i32 s69, 0, s0
	s_movk_i32 s70, 0x1ff
	s_movk_i32 s71, 0xffe
	;; [unrolled: 1-line block ×3, first 2 shown]
	s_mov_b32 s73, 0x8000
	s_mov_b64 s[52:53], 0
	s_branch .LBB39_3
.LBB39_2:                               ;   in Loop: Header=BB39_3 Depth=1
	v_add_u32_e32 v0, s66, v0
	v_cmp_le_i32_e32 vcc, s3, v0
	s_or_b64 s[52:53], vcc, s[52:53]
	s_andn2_b64 exec, exec, s[52:53]
	s_cbranch_execz .LBB39_20
.LBB39_3:                               ; =>This Loop Header: Depth=1
                                        ;     Child Loop BB39_8 Depth 2
                                        ;       Child Loop BB39_11 Depth 3
                                        ;         Child Loop BB39_14 Depth 4
	v_sub_u32_e32 v1, 0, v0
	v_max_i32_e32 v2, v0, v1
	v_mul_hi_u32 v1, v2, v5
	v_ashrrev_i32_e32 v4, 31, v0
	v_xor_b32_e32 v11, s68, v4
	v_xor_b32_e32 v4, s67, v4
	v_mul_lo_u32 v3, v1, s63
	v_add_u32_e32 v12, 1, v1
	s_mov_b64 s[54:55], -1
	v_sub_u32_e32 v3, v2, v3
	v_cmp_le_u32_e32 vcc, s63, v3
	v_cndmask_b32_e32 v1, v1, v12, vcc
	v_subrev_u32_e32 v12, s63, v3
	v_cndmask_b32_e32 v3, v3, v12, vcc
	v_add_u32_e32 v12, 1, v1
	v_cmp_le_u32_e32 vcc, s63, v3
	v_cndmask_b32_e32 v1, v1, v12, vcc
	v_xor_b32_e32 v1, v1, v11
	v_sub_u32_e32 v1, v1, v11
	v_sub_u32_e32 v3, 0, v1
	v_max_i32_e32 v3, v1, v3
	v_mul_hi_u32 v11, v2, v8
	v_mul_hi_u32 v12, v3, v7
	v_mul_lo_u32 v13, v11, s65
	v_mul_lo_u32 v12, v12, s64
	v_sub_u32_e32 v13, v2, v13
	v_sub_u32_e32 v2, v3, v12
	v_subrev_u32_e32 v3, s64, v2
	v_cmp_le_u32_e32 vcc, s64, v2
	v_cndmask_b32_e32 v2, v2, v3, vcc
	v_add_u32_e32 v3, 1, v11
	v_cmp_le_u32_e32 vcc, s65, v13
	v_cndmask_b32_e32 v3, v11, v3, vcc
	v_subrev_u32_e32 v11, s65, v13
	v_cndmask_b32_e32 v11, v13, v11, vcc
	v_add_u32_e32 v12, 1, v3
	v_cmp_le_u32_e32 vcc, s65, v11
	v_cndmask_b32_e32 v3, v3, v12, vcc
	v_xor_b32_e32 v3, v3, v4
	v_sub_u32_e32 v3, v3, v4
	v_cmp_le_u32_e64 s[0:1], s64, v2
	s_andn2_b64 vcc, exec, s[34:35]
	v_ashrrev_i32_e32 v4, 31, v3
	s_cbranch_vccnz .LBB39_5
; %bb.4:                                ;   in Loop: Header=BB39_3 Depth=1
	s_mov_b64 s[54:55], 0
.LBB39_5:                               ;   in Loop: Header=BB39_3 Depth=1
	v_mul_lo_u32 v11, v1, s2
	v_ashrrev_i32_e32 v12, 31, v1
	v_subrev_u32_e32 v1, s64, v2
	v_cndmask_b32_e64 v1, v2, v1, s[0:1]
	v_xor_b32_e32 v13, v1, v12
	v_mov_b32_e32 v1, 0
	v_sub_u32_e32 v11, v0, v11
	v_mov_b32_e32 v2, 0
	s_andn2_b64 vcc, exec, s[54:55]
	v_sub_u32_e32 v12, v13, v12
	s_cbranch_vccnz .LBB39_16
; %bb.6:                                ;   in Loop: Header=BB39_3 Depth=1
	v_mul_lo_u32 v14, s13, v3
	v_mul_lo_u32 v15, s12, v4
	v_mad_u64_u32 v[1:2], s[0:1], s12, v3, 0
	v_mul_lo_u32 v16, v11, s6
	v_mul_lo_u32 v13, v12, s5
	v_add3_u32 v2, v2, v15, v14
	v_lshlrev_b64 v[1:2], 1, v[1:2]
	v_mov_b32_e32 v15, s28
	v_add_co_u32_e32 v14, vcc, s27, v1
	v_addc_co_u32_e32 v15, vcc, v15, v2, vcc
	v_mov_b32_e32 v1, 0
	v_add_u32_e32 v16, s69, v16
	v_mov_b32_e32 v2, 0
	s_mov_b32 s74, 0
	s_mov_b64 s[54:55], s[14:15]
	s_branch .LBB39_8
.LBB39_7:                               ;   in Loop: Header=BB39_8 Depth=2
	s_add_i32 s74, s74, 1
	s_add_u32 s54, s54, s50
	s_addc_u32 s55, s55, s51
	s_cmp_eq_u32 s74, s26
	s_cbranch_scc1 .LBB39_16
.LBB39_8:                               ;   Parent Loop BB39_3 Depth=1
                                        ; =>  This Loop Header: Depth=2
                                        ;       Child Loop BB39_11 Depth 3
                                        ;         Child Loop BB39_14 Depth 4
	s_andn2_b64 vcc, exec, s[36:37]
	s_cbranch_vccnz .LBB39_7
; %bb.9:                                ;   in Loop: Header=BB39_8 Depth=2
	s_mul_i32 s0, s17, s74
	s_mul_hi_u32 s1, s16, s74
	s_add_i32 s1, s1, s0
	s_mul_i32 s0, s16, s74
	s_lshl_b64 s[0:1], s[0:1], 1
	v_mov_b32_e32 v18, s1
	v_add_co_u32_e32 v17, vcc, s0, v14
	v_addc_co_u32_e32 v18, vcc, v15, v18, vcc
	s_mov_b32 s75, 0
	s_mov_b64 s[56:57], s[54:55]
	s_branch .LBB39_11
.LBB39_10:                              ;   in Loop: Header=BB39_11 Depth=3
	s_add_i32 s75, s75, 1
	s_add_u32 s56, s56, s44
	s_addc_u32 s57, s57, s45
	s_cmp_eq_u32 s75, s29
	s_cbranch_scc1 .LBB39_7
.LBB39_11:                              ;   Parent Loop BB39_3 Depth=1
                                        ;     Parent Loop BB39_8 Depth=2
                                        ; =>    This Loop Header: Depth=3
                                        ;         Child Loop BB39_14 Depth 4
	s_andn2_b64 vcc, exec, s[38:39]
	s_cbranch_vccnz .LBB39_10
; %bb.12:                               ;   in Loop: Header=BB39_11 Depth=3
	s_mul_i32 s0, s75, s31
	s_sub_i32 s0, s0, s7
	v_add_u32_e32 v22, s0, v13
	v_mad_u64_u32 v[19:20], s[0:1], s10, v22, 0
	v_cmp_gt_i32_e32 vcc, 0, v22
	s_mov_b64 s[60:61], s[56:57]
	v_mad_u64_u32 v[20:21], s[0:1], s11, v22, v[20:21]
	v_cmp_le_i32_e64 s[0:1], s24, v22
	s_or_b64 s[58:59], vcc, s[0:1]
	v_lshlrev_b64 v[19:20], 1, v[19:20]
	v_mov_b32_e32 v21, v16
	v_add_co_u32_e32 v19, vcc, v17, v19
	v_addc_co_u32_e32 v20, vcc, v18, v20, vcc
	s_mov_b32 s76, s30
	s_branch .LBB39_14
.LBB39_13:                              ;   in Loop: Header=BB39_14 Depth=4
	s_or_b64 exec, exec, s[0:1]
	s_add_i32 s76, s76, -1
	s_add_u32 s60, s60, s46
	s_addc_u32 s61, s61, s47
	s_cmp_eq_u32 s76, 0
	v_add_u32_e32 v21, s4, v21
	s_cbranch_scc1 .LBB39_10
.LBB39_14:                              ;   Parent Loop BB39_3 Depth=1
                                        ;     Parent Loop BB39_8 Depth=2
                                        ;       Parent Loop BB39_11 Depth=3
                                        ; =>      This Inner Loop Header: Depth=4
	v_cmp_gt_i32_e32 vcc, 0, v21
	v_cmp_le_i32_e64 s[0:1], s25, v21
	s_or_b64 s[0:1], vcc, s[0:1]
	s_nor_b64 s[78:79], s[58:59], s[0:1]
	s_and_saveexec_b64 s[0:1], s[78:79]
	s_cbranch_execz .LBB39_13
; %bb.15:                               ;   in Loop: Header=BB39_14 Depth=4
	v_mad_u64_u32 v[22:23], s[78:79], s8, v21, 0
	v_mad_u64_u32 v[23:24], s[78:79], s9, v21, v[23:24]
	v_lshlrev_b64 v[22:23], 1, v[22:23]
	v_add_co_u32_e32 v22, vcc, v19, v22
	v_addc_co_u32_e32 v23, vcc, v20, v23, vcc
	global_load_ushort v22, v[22:23], off
	s_nop 0
	global_load_ushort v23, v6, s[60:61]
	s_waitcnt vmcnt(1)
	v_cvt_f32_f16_e32 v22, v22
	s_waitcnt vmcnt(0)
	v_cvt_f32_f16_e32 v24, v23
	v_cvt_f64_f32_e32 v[22:23], v22
	v_cvt_f64_f32_e32 v[24:25], v24
	v_fma_f64 v[1:2], v[22:23], v[24:25], v[1:2]
	s_branch .LBB39_13
.LBB39_16:                              ;   in Loop: Header=BB39_3 Depth=1
	v_ashrrev_i32_e32 v13, 31, v11
	v_mul_lo_u32 v15, s19, v11
	v_mul_lo_u32 v16, s18, v13
	v_mad_u64_u32 v[13:14], s[0:1], s18, v11, 0
	v_ashrrev_i32_e32 v11, 31, v12
	v_mul_lo_u32 v11, s20, v11
	v_add3_u32 v14, v14, v16, v15
	v_mad_u64_u32 v[13:14], s[0:1], s20, v12, v[13:14]
	v_mul_lo_u32 v12, s21, v12
	v_mul_lo_u32 v4, v4, s22
	s_and_b64 vcc, exec, s[48:49]
	v_add3_u32 v14, v12, v14, v11
	v_mad_u64_u32 v[11:12], s[0:1], v3, s22, v[13:14]
	v_mul_lo_u32 v3, v3, s23
	s_mov_b64 s[0:1], -1
	v_add3_u32 v12, v4, v12, v3
	v_lshlrev_b64 v[3:4], 1, v[11:12]
	s_cbranch_vccz .LBB39_18
; %bb.17:                               ;   in Loop: Header=BB39_3 Depth=1
	v_mov_b32_e32 v12, s62
	v_add_co_u32_e32 v11, vcc, s33, v3
	v_addc_co_u32_e32 v12, vcc, v12, v4, vcc
	global_load_ushort v13, v[11:12], off
	s_mov_b64 s[0:1], 0
	s_waitcnt vmcnt(0)
	v_cvt_f32_f16_e32 v13, v13
	v_cvt_f64_f32_e32 v[13:14], v13
	v_mul_f64 v[13:14], s[42:43], v[13:14]
	v_fma_f64 v[13:14], s[40:41], v[1:2], v[13:14]
	v_and_or_b32 v13, v14, s70, v13
	v_cmp_ne_u32_e32 vcc, 0, v13
	v_lshrrev_b32_e32 v15, 8, v14
	v_bfe_u32 v16, v14, 20, 11
	v_cndmask_b32_e64 v13, 0, 1, vcc
	v_sub_u32_e32 v17, 0x3f1, v16
	v_and_or_b32 v13, v15, s71, v13
	v_med3_i32 v15, v17, 0, 13
	v_or_b32_e32 v17, 0x1000, v13
	v_lshrrev_b32_e32 v19, v15, v17
	v_add_u32_e32 v16, 0xfffffc10, v16
	v_cmp_ne_u32_e32 vcc, 0, v13
	v_lshlrev_b32_e32 v15, v15, v19
	v_lshl_or_b32 v18, v16, 12, v13
	v_cndmask_b32_e32 v13, v9, v10, vcc
	v_cmp_ne_u32_e32 vcc, v15, v17
	v_cndmask_b32_e64 v15, 0, 1, vcc
	v_or_b32_e32 v15, v19, v15
	v_cmp_gt_i32_e32 vcc, 1, v16
	v_cndmask_b32_e32 v15, v18, v15, vcc
	v_and_b32_e32 v17, 7, v15
	v_cmp_lt_i32_e32 vcc, 5, v17
	v_cndmask_b32_e64 v18, 0, 1, vcc
	v_cmp_eq_u32_e32 vcc, 3, v17
	v_cndmask_b32_e64 v17, 0, 1, vcc
	v_lshrrev_b32_e32 v15, 2, v15
	v_or_b32_e32 v17, v17, v18
	v_add_u32_e32 v15, v15, v17
	v_cmp_gt_i32_e32 vcc, 31, v16
	v_cndmask_b32_e32 v15, v9, v15, vcc
	v_cmp_eq_u32_e32 vcc, s72, v16
	v_lshrrev_b32_e32 v14, 16, v14
	v_cndmask_b32_e32 v13, v15, v13, vcc
	v_and_or_b32 v13, v14, s73, v13
	global_store_short v[11:12], v13, off
.LBB39_18:                              ;   in Loop: Header=BB39_3 Depth=1
	s_andn2_b64 vcc, exec, s[0:1]
	s_cbranch_vccnz .LBB39_2
; %bb.19:                               ;   in Loop: Header=BB39_3 Depth=1
	v_and_or_b32 v1, v2, s70, v1
	v_cmp_ne_u32_e32 vcc, 0, v1
	v_cndmask_b32_e64 v1, 0, 1, vcc
	v_lshrrev_b32_e32 v11, 8, v2
	v_bfe_u32 v12, v2, 20, 11
	v_and_or_b32 v1, v11, s71, v1
	v_sub_u32_e32 v13, 0x3f1, v12
	v_or_b32_e32 v11, 0x1000, v1
	v_med3_i32 v13, v13, 0, 13
	v_lshrrev_b32_e32 v14, v13, v11
	v_lshlrev_b32_e32 v13, v13, v14
	v_cmp_ne_u32_e32 vcc, v13, v11
	v_cndmask_b32_e64 v11, 0, 1, vcc
	v_add_u32_e32 v12, 0xfffffc10, v12
	v_or_b32_e32 v11, v14, v11
	v_lshl_or_b32 v13, v12, 12, v1
	v_cmp_gt_i32_e32 vcc, 1, v12
	v_cndmask_b32_e32 v11, v13, v11, vcc
	v_and_b32_e32 v13, 7, v11
	v_cmp_lt_i32_e32 vcc, 5, v13
	v_cndmask_b32_e64 v14, 0, 1, vcc
	v_cmp_eq_u32_e32 vcc, 3, v13
	v_cndmask_b32_e64 v13, 0, 1, vcc
	v_or_b32_e32 v13, v13, v14
	v_lshrrev_b32_e32 v11, 2, v11
	v_add_u32_e32 v11, v11, v13
	v_cmp_gt_i32_e32 vcc, 31, v12
	v_cndmask_b32_e32 v11, v9, v11, vcc
	v_cmp_ne_u32_e32 vcc, 0, v1
	v_cndmask_b32_e32 v1, v9, v10, vcc
	v_cmp_eq_u32_e32 vcc, s72, v12
	v_cndmask_b32_e32 v1, v11, v1, vcc
	v_lshrrev_b32_e32 v2, 16, v2
	v_and_or_b32 v11, v2, s73, v1
	v_mov_b32_e32 v2, s62
	v_add_co_u32_e32 v1, vcc, s33, v3
	v_addc_co_u32_e32 v2, vcc, v2, v4, vcc
	global_store_short v[1:2], v11, off
	s_branch .LBB39_2
.LBB39_20:
	s_endpgm
	.section	.rodata,"a",@progbits
	.p2align	6, 0x0
	.amdhsa_kernel naive_conv_ab_nonpacked_wrw_nchw_half_double_half
		.amdhsa_group_segment_fixed_size 0
		.amdhsa_private_segment_fixed_size 0
		.amdhsa_kernarg_size 480
		.amdhsa_user_sgpr_count 6
		.amdhsa_user_sgpr_private_segment_buffer 1
		.amdhsa_user_sgpr_dispatch_ptr 0
		.amdhsa_user_sgpr_queue_ptr 0
		.amdhsa_user_sgpr_kernarg_segment_ptr 1
		.amdhsa_user_sgpr_dispatch_id 0
		.amdhsa_user_sgpr_flat_scratch_init 0
		.amdhsa_user_sgpr_private_segment_size 0
		.amdhsa_uses_dynamic_stack 0
		.amdhsa_system_sgpr_private_segment_wavefront_offset 0
		.amdhsa_system_sgpr_workgroup_id_x 1
		.amdhsa_system_sgpr_workgroup_id_y 0
		.amdhsa_system_sgpr_workgroup_id_z 0
		.amdhsa_system_sgpr_workgroup_info 0
		.amdhsa_system_vgpr_workitem_id 0
		.amdhsa_next_free_vgpr 26
		.amdhsa_next_free_sgpr 80
		.amdhsa_reserve_vcc 1
		.amdhsa_reserve_flat_scratch 0
		.amdhsa_float_round_mode_32 0
		.amdhsa_float_round_mode_16_64 0
		.amdhsa_float_denorm_mode_32 3
		.amdhsa_float_denorm_mode_16_64 3
		.amdhsa_dx10_clamp 1
		.amdhsa_ieee_mode 1
		.amdhsa_fp16_overflow 0
		.amdhsa_exception_fp_ieee_invalid_op 0
		.amdhsa_exception_fp_denorm_src 0
		.amdhsa_exception_fp_ieee_div_zero 0
		.amdhsa_exception_fp_ieee_overflow 0
		.amdhsa_exception_fp_ieee_underflow 0
		.amdhsa_exception_fp_ieee_inexact 0
		.amdhsa_exception_int_div_zero 0
	.end_amdhsa_kernel
	.text
.Lfunc_end39:
	.size	naive_conv_ab_nonpacked_wrw_nchw_half_double_half, .Lfunc_end39-naive_conv_ab_nonpacked_wrw_nchw_half_double_half
                                        ; -- End function
	.set naive_conv_ab_nonpacked_wrw_nchw_half_double_half.num_vgpr, 26
	.set naive_conv_ab_nonpacked_wrw_nchw_half_double_half.num_agpr, 0
	.set naive_conv_ab_nonpacked_wrw_nchw_half_double_half.numbered_sgpr, 80
	.set naive_conv_ab_nonpacked_wrw_nchw_half_double_half.num_named_barrier, 0
	.set naive_conv_ab_nonpacked_wrw_nchw_half_double_half.private_seg_size, 0
	.set naive_conv_ab_nonpacked_wrw_nchw_half_double_half.uses_vcc, 1
	.set naive_conv_ab_nonpacked_wrw_nchw_half_double_half.uses_flat_scratch, 0
	.set naive_conv_ab_nonpacked_wrw_nchw_half_double_half.has_dyn_sized_stack, 0
	.set naive_conv_ab_nonpacked_wrw_nchw_half_double_half.has_recursion, 0
	.set naive_conv_ab_nonpacked_wrw_nchw_half_double_half.has_indirect_call, 0
	.section	.AMDGPU.csdata,"",@progbits
; Kernel info:
; codeLenInByte = 1984
; TotalNumSgprs: 84
; NumVgprs: 26
; ScratchSize: 0
; MemoryBound: 0
; FloatMode: 240
; IeeeMode: 1
; LDSByteSize: 0 bytes/workgroup (compile time only)
; SGPRBlocks: 10
; VGPRBlocks: 6
; NumSGPRsForWavesPerEU: 84
; NumVGPRsForWavesPerEU: 26
; Occupancy: 9
; WaveLimiterHint : 0
; COMPUTE_PGM_RSRC2:SCRATCH_EN: 0
; COMPUTE_PGM_RSRC2:USER_SGPR: 6
; COMPUTE_PGM_RSRC2:TRAP_HANDLER: 0
; COMPUTE_PGM_RSRC2:TGID_X_EN: 1
; COMPUTE_PGM_RSRC2:TGID_Y_EN: 0
; COMPUTE_PGM_RSRC2:TGID_Z_EN: 0
; COMPUTE_PGM_RSRC2:TIDIG_COMP_CNT: 0
	.text
	.protected	naive_conv_ab_packed_wrw_nchw_ushort_double_ushort ; -- Begin function naive_conv_ab_packed_wrw_nchw_ushort_double_ushort
	.globl	naive_conv_ab_packed_wrw_nchw_ushort_double_ushort
	.p2align	8
	.type	naive_conv_ab_packed_wrw_nchw_ushort_double_ushort,@function
naive_conv_ab_packed_wrw_nchw_ushort_double_ushort: ; @naive_conv_ab_packed_wrw_nchw_ushort_double_ushort
; %bb.0:
	s_load_dwordx16 s[8:23], s[4:5], 0xa0
	s_waitcnt lgkmcnt(0)
	s_abs_i32 s1, s11
	v_cvt_f32_u32_e32 v1, s1
	s_mul_i32 s0, s22, s21
	s_mul_i32 s33, s0, s12
	v_cmp_gt_i32_e32 vcc, s33, v0
	v_rcp_iflag_f32_e32 v1, v1
	v_mul_f32_e32 v1, 0x4f7ffffe, v1
	v_cvt_u32_f32_e32 v1, v1
	v_readfirstlane_b32 s2, v1
	s_and_saveexec_b64 s[24:25], vcc
	s_cbranch_execz .LBB40_20
; %bb.1:
	s_sub_i32 s35, 0, s1
	s_mul_i32 s35, s35, s2
	s_mul_hi_u32 s35, s2, s35
	s_abs_i32 s34, s6
	s_add_i32 s2, s2, s35
	s_ashr_i32 s3, s6, 31
	s_ashr_i32 s7, s11, 31
	s_mul_hi_u32 s2, s34, s2
	s_xor_b32 s3, s3, s7
	s_mul_i32 s7, s2, s1
	s_sub_i32 s7, s34, s7
	s_add_i32 s34, s2, 1
	s_sub_i32 s35, s7, s1
	s_cmp_ge_u32 s7, s1
	s_cselect_b32 s2, s34, s2
	s_cselect_b32 s7, s35, s7
	s_add_i32 s34, s2, 1
	s_cmp_ge_u32 s7, s1
	s_cselect_b32 s1, s34, s2
	s_xor_b32 s1, s1, s3
	s_sub_i32 s1, s1, s3
	s_ashr_i32 s3, s12, 31
	s_mul_i32 s35, s9, s8
	s_mul_hi_i32 s34, s9, s8
	s_mul_i32 s3, s35, s3
	s_mul_hi_u32 s36, s35, s12
	s_add_i32 s3, s36, s3
	s_mul_i32 s34, s34, s12
	s_load_dwordx8 s[24:31], s[4:5], 0x0
	s_ashr_i32 s2, s1, 31
	s_add_i32 s3, s3, s34
	s_mul_i32 s34, s35, s12
	s_mul_i32 s2, s34, s2
	s_mul_hi_u32 s35, s34, s1
	s_add_i32 s2, s35, s2
	s_mul_i32 s3, s3, s1
	s_mul_i32 s7, s1, s11
	s_add_i32 s3, s2, s3
	s_mul_i32 s2, s34, s1
	s_sub_i32 s6, s6, s7
	s_ashr_i32 s40, s8, 31
	s_ashr_i32 s41, s9, 31
	s_lshl_b64 s[2:3], s[2:3], 1
	s_waitcnt lgkmcnt(0)
	s_add_u32 s42, s24, s2
	s_addc_u32 s43, s25, s3
	s_ashr_i32 s44, s21, 31
	s_ashr_i32 s45, s22, 31
	;; [unrolled: 1-line block ×3, first 2 shown]
	s_mul_hi_i32 s1, s1, s11
	s_add_u32 s36, s7, s6
	s_addc_u32 s37, s1, s2
	s_mul_i32 s2, s21, s12
	s_mul_hi_i32 s1, s21, s12
	s_mul_i32 s3, s2, s45
	s_mul_hi_u32 s6, s2, s22
	s_add_i32 s3, s6, s3
	s_mul_i32 s1, s1, s22
	s_mul_i32 s2, s2, s22
	s_add_i32 s1, s3, s1
	s_mul_i32 s3, s2, s37
	s_mul_hi_u32 s6, s2, s36
	s_add_i32 s3, s6, s3
	s_mul_i32 s1, s1, s36
	s_add_i32 s3, s3, s1
	s_mul_i32 s2, s2, s36
	s_lshl_b64 s[2:3], s[2:3], 1
	s_add_u32 s46, s26, s2
	s_addc_u32 s47, s27, s3
	s_ashr_i32 s1, s14, 31
	s_cmp_lt_i32 s10, 1
	s_cselect_b64 s[2:3], -1, 0
	s_cmp_gt_i32 s13, 0
	s_cselect_b64 s[6:7], -1, 0
	s_cmp_gt_i32 s14, 0
	s_mul_i32 s48, s23, s12
	s_mul_i32 s12, s23, s11
	s_load_dwordx2 s[34:35], s[4:5], 0x20
	s_load_dword s23, s[4:5], 0xec
	s_cselect_b64 s[4:5], -1, 0
	s_abs_i32 s51, s21
	s_abs_i32 s50, s22
	;; [unrolled: 1-line block ×3, first 2 shown]
	v_cvt_f32_u32_e32 v2, s51
	v_cvt_f32_u32_e32 v1, s50
	v_cvt_f32_u32_e32 v3, s53
	v_cmp_neq_f64_e64 s[24:25], s[28:29], 1.0
	v_cmp_neq_f64_e64 s[26:27], s[30:31], 0
	v_rcp_iflag_f32_e32 v2, v2
	v_rcp_iflag_f32_e32 v1, v1
	;; [unrolled: 1-line block ×3, first 2 shown]
	s_mul_i32 s59, s14, s13
	v_mul_f32_e32 v2, 0x4f7ffffe, v2
	v_mul_f32_e32 v1, 0x4f7ffffe, v1
	v_cvt_u32_f32_e32 v5, v2
	v_mul_f32_e32 v2, 0x4f7ffffe, v3
	v_cvt_u32_f32_e32 v1, v1
	v_cvt_u32_f32_e32 v3, v2
	s_or_b64 s[24:25], s[24:25], s[26:27]
	s_ashr_i32 s52, s0, 31
	s_mul_i32 s0, s59, s37
	s_mul_hi_u32 s26, s59, s36
	s_mul_hi_i32 s37, s14, s13
	s_add_i32 s0, s26, s0
	s_mul_i32 s26, s37, s36
	s_waitcnt lgkmcnt(0)
	s_and_b32 s49, s23, 0xffff
	s_sub_i32 s23, 0, s50
	s_sub_i32 s39, 0, s51
	s_add_i32 s27, s0, s26
	s_sub_i32 s0, 0, s53
	v_mul_lo_u32 v4, s23, v1
	v_mul_lo_u32 v2, s39, v5
	;; [unrolled: 1-line block ×3, first 2 shown]
	s_mul_i32 s26, s59, s36
	s_ashr_i32 s11, s48, 31
	s_ashr_i32 s38, s12, 31
	s_lshl_b64 s[26:27], s[26:27], 1
	v_mul_hi_u32 v4, v1, v4
	v_mul_hi_u32 v7, v5, v2
	;; [unrolled: 1-line block ×3, first 2 shown]
	s_add_u32 s26, s34, s26
	s_mov_b32 s54, s8
	s_mul_hi_u32 s0, s59, s12
	s_mul_i32 s8, s59, s38
	s_addc_u32 s27, s35, s27
	s_add_i32 s8, s0, s8
	s_mul_i32 s37, s37, s12
	s_mov_b32 s58, s13
	s_mov_b32 s0, s14
	s_add_i32 s13, s8, s37
	s_mul_i32 s12, s59, s12
	s_mov_b32 s55, s9
	s_mov_b32 s56, s21
	;; [unrolled: 1-line block ×3, first 2 shown]
	s_mov_b64 s[8:9], 0
	v_add_u32_e32 v11, v1, v4
	v_mov_b32_e32 v2, 0
	v_add_u32_e32 v12, v5, v7
	v_add_u32_e32 v13, v3, v6
	s_lshl_b64 s[12:13], s[12:13], 1
	s_lshl_b64 s[22:23], s[0:1], 1
	s_sub_i32 s59, 0, s20
	s_mov_b32 s60, 0x7f800000
	s_branch .LBB40_3
.LBB40_2:                               ;   in Loop: Header=BB40_3 Depth=1
	v_add_u32_e32 v0, s49, v0
	v_cmp_le_i32_e32 vcc, s33, v0
	s_or_b64 s[8:9], vcc, s[8:9]
	s_andn2_b64 exec, exec, s[8:9]
	s_cbranch_execz .LBB40_20
.LBB40_3:                               ; =>This Loop Header: Depth=1
                                        ;     Child Loop BB40_8 Depth 2
                                        ;       Child Loop BB40_11 Depth 3
                                        ;         Child Loop BB40_14 Depth 4
	v_sub_u32_e32 v1, 0, v0
	v_max_i32_e32 v3, v0, v1
	v_mul_hi_u32 v1, v3, v11
	v_ashrrev_i32_e32 v5, 31, v0
	v_xor_b32_e32 v6, s45, v5
	v_xor_b32_e32 v5, s52, v5
	v_mul_lo_u32 v4, v1, s50
	v_add_u32_e32 v7, 1, v1
	s_mov_b64 s[20:21], -1
	v_sub_u32_e32 v4, v3, v4
	v_cmp_le_u32_e32 vcc, s50, v4
	v_cndmask_b32_e32 v1, v1, v7, vcc
	v_subrev_u32_e32 v7, s50, v4
	v_cndmask_b32_e32 v4, v4, v7, vcc
	v_add_u32_e32 v7, 1, v1
	v_cmp_le_u32_e32 vcc, s50, v4
	v_cndmask_b32_e32 v1, v1, v7, vcc
	v_xor_b32_e32 v1, v1, v6
	v_sub_u32_e32 v1, v1, v6
	v_sub_u32_e32 v4, 0, v1
	v_max_i32_e32 v4, v1, v4
	v_mul_hi_u32 v6, v3, v13
	v_mul_hi_u32 v7, v4, v12
	v_mul_lo_u32 v8, v6, s53
	v_mul_lo_u32 v7, v7, s51
	v_sub_u32_e32 v8, v3, v8
	v_sub_u32_e32 v3, v4, v7
	v_subrev_u32_e32 v4, s51, v3
	v_cmp_le_u32_e32 vcc, s51, v3
	v_cndmask_b32_e32 v3, v3, v4, vcc
	v_add_u32_e32 v4, 1, v6
	v_cmp_le_u32_e32 vcc, s53, v8
	v_cndmask_b32_e32 v4, v6, v4, vcc
	v_subrev_u32_e32 v6, s53, v8
	v_cndmask_b32_e32 v6, v8, v6, vcc
	v_add_u32_e32 v7, 1, v4
	v_cmp_le_u32_e32 vcc, s53, v6
	v_cndmask_b32_e32 v4, v4, v7, vcc
	v_xor_b32_e32 v4, v4, v5
	v_sub_u32_e32 v5, v4, v5
	v_cmp_le_u32_e64 s[0:1], s51, v3
	s_andn2_b64 vcc, exec, s[2:3]
	v_ashrrev_i32_e32 v6, 31, v5
	s_cbranch_vccnz .LBB40_5
; %bb.4:                                ;   in Loop: Header=BB40_3 Depth=1
	s_mov_b64 s[20:21], 0
.LBB40_5:                               ;   in Loop: Header=BB40_3 Depth=1
	v_mul_lo_u32 v4, v1, s57
	v_subrev_u32_e32 v7, s51, v3
	v_ashrrev_i32_e32 v1, 31, v1
	v_cndmask_b32_e64 v3, v3, v7, s[0:1]
	v_sub_u32_e32 v7, v0, v4
	v_xor_b32_e32 v8, v3, v1
	v_mov_b32_e32 v3, 0
	v_mov_b32_e32 v4, 0
	s_andn2_b64 vcc, exec, s[20:21]
	v_sub_u32_e32 v8, v8, v1
	s_cbranch_vccnz .LBB40_16
; %bb.6:                                ;   in Loop: Header=BB40_3 Depth=1
	v_mul_lo_u32 v1, v7, s18
	v_mul_lo_u32 v14, v8, s17
	v_mov_b32_e32 v3, 0
	v_mov_b32_e32 v4, 0
	s_mov_b32 s61, 0
	v_add_u32_e32 v15, s59, v1
	s_mov_b64 s[20:21], s[26:27]
	s_branch .LBB40_8
.LBB40_7:                               ;   in Loop: Header=BB40_8 Depth=2
	s_add_i32 s61, s61, 1
	s_add_u32 s20, s20, s12
	s_addc_u32 s21, s21, s13
	s_cmp_eq_u32 s61, s10
	s_cbranch_scc1 .LBB40_16
.LBB40_8:                               ;   Parent Loop BB40_3 Depth=1
                                        ; =>  This Loop Header: Depth=2
                                        ;       Child Loop BB40_11 Depth 3
                                        ;         Child Loop BB40_14 Depth 4
	s_andn2_b64 vcc, exec, s[6:7]
	s_cbranch_vccnz .LBB40_7
; %bb.9:                                ;   in Loop: Header=BB40_8 Depth=2
	v_mov_b32_e32 v1, s48
	v_mad_u64_u32 v[9:10], s[0:1], s61, v1, v[5:6]
	s_mul_i32 s0, s61, s11
	s_mov_b32 s62, 0
	v_add_u32_e32 v1, s0, v10
	v_mul_lo_u32 v16, v9, s40
	v_mad_u64_u32 v[9:10], s[0:1], v9, s54, 0
	v_mul_lo_u32 v1, v1, s54
	s_mov_b64 s[34:35], s[20:21]
	v_add3_u32 v10, v10, v16, v1
	s_branch .LBB40_11
.LBB40_10:                              ;   in Loop: Header=BB40_11 Depth=3
	s_add_i32 s62, s62, 1
	s_add_u32 s34, s34, s22
	s_addc_u32 s35, s35, s23
	s_cmp_eq_u32 s62, s58
	s_cbranch_scc1 .LBB40_7
.LBB40_11:                              ;   Parent Loop BB40_3 Depth=1
                                        ;     Parent Loop BB40_8 Depth=2
                                        ; =>    This Loop Header: Depth=3
                                        ;         Child Loop BB40_14 Depth 4
	s_andn2_b64 vcc, exec, s[4:5]
	s_cbranch_vccnz .LBB40_10
; %bb.12:                               ;   in Loop: Header=BB40_11 Depth=3
	s_mul_i32 s0, s62, s15
	s_sub_i32 s0, s0, s19
	v_add_u32_e32 v1, s0, v14
	v_add_co_u32_e32 v16, vcc, v9, v1
	v_addc_co_u32_e32 v17, vcc, 0, v10, vcc
	v_mul_lo_u32 v18, v17, s55
	v_mul_lo_u32 v19, v16, s41
	v_mad_u64_u32 v[16:17], s[0:1], v16, s55, 0
	v_cmp_gt_i32_e32 vcc, 0, v1
	v_cmp_le_i32_e64 s[0:1], s54, v1
	v_add3_u32 v17, v17, v19, v18
	v_lshlrev_b64 v[16:17], 1, v[16:17]
	s_or_b64 s[36:37], vcc, s[0:1]
	v_mov_b32_e32 v1, s43
	v_add_co_u32_e32 v16, vcc, s42, v16
	v_addc_co_u32_e32 v17, vcc, v1, v17, vcc
	v_mov_b32_e32 v1, v15
	s_mov_b64 s[38:39], s[34:35]
	s_mov_b32 s63, s14
	s_branch .LBB40_14
.LBB40_13:                              ;   in Loop: Header=BB40_14 Depth=4
	s_or_b64 exec, exec, s[0:1]
	s_add_i32 s63, s63, -1
	s_add_u32 s38, s38, 2
	s_addc_u32 s39, s39, 0
	s_cmp_eq_u32 s63, 0
	v_add_u32_e32 v1, s16, v1
	s_cbranch_scc1 .LBB40_10
.LBB40_14:                              ;   Parent Loop BB40_3 Depth=1
                                        ;     Parent Loop BB40_8 Depth=2
                                        ;       Parent Loop BB40_11 Depth=3
                                        ; =>      This Inner Loop Header: Depth=4
	v_cmp_gt_i32_e32 vcc, 0, v1
	v_cmp_le_i32_e64 s[0:1], s55, v1
	s_or_b64 s[0:1], vcc, s[0:1]
	s_nor_b64 s[64:65], s[36:37], s[0:1]
	s_and_saveexec_b64 s[0:1], s[64:65]
	s_cbranch_execz .LBB40_13
; %bb.15:                               ;   in Loop: Header=BB40_14 Depth=4
	v_lshlrev_b64 v[18:19], 1, v[1:2]
	v_add_co_u32_e32 v18, vcc, v16, v18
	v_addc_co_u32_e32 v19, vcc, v17, v19, vcc
	global_load_ushort v20, v2, s[38:39]
	s_nop 0
	global_load_ushort v18, v[18:19], off
	s_waitcnt vmcnt(1)
	v_lshlrev_b32_e32 v19, 16, v20
	s_waitcnt vmcnt(0)
	v_lshlrev_b32_e32 v20, 16, v18
	v_cvt_f64_f32_e32 v[18:19], v19
	v_cvt_f64_f32_e32 v[20:21], v20
	v_fma_f64 v[3:4], v[20:21], v[18:19], v[3:4]
	s_branch .LBB40_13
.LBB40_16:                              ;   in Loop: Header=BB40_3 Depth=1
	v_ashrrev_i32_e32 v9, 31, v8
	v_mul_lo_u32 v1, v5, s44
	v_mul_lo_u32 v10, v6, s56
	v_mad_u64_u32 v[5:6], s[0:1], v5, s56, v[8:9]
	v_ashrrev_i32_e32 v8, 31, v7
	s_and_b64 vcc, exec, s[24:25]
	v_add3_u32 v1, v10, v6, v1
	v_mul_lo_u32 v1, v1, s57
	v_mad_u64_u32 v[6:7], s[0:1], v5, s57, v[7:8]
	v_mul_lo_u32 v5, v5, s45
	s_mov_b64 s[0:1], -1
	v_add3_u32 v7, v1, v7, v5
	v_lshlrev_b64 v[5:6], 1, v[6:7]
	s_cbranch_vccz .LBB40_18
; %bb.17:                               ;   in Loop: Header=BB40_3 Depth=1
	v_mov_b32_e32 v1, s47
	v_add_co_u32_e32 v7, vcc, s46, v5
	v_addc_co_u32_e32 v8, vcc, v1, v6, vcc
	global_load_ushort v1, v[7:8], off
	s_waitcnt vmcnt(0)
	v_lshlrev_b32_e32 v1, 16, v1
	v_cvt_f64_f32_e32 v[9:10], v1
	v_mul_f64 v[9:10], s[30:31], v[9:10]
	v_fma_f64 v[9:10], s[28:29], v[3:4], v[9:10]
	v_cvt_f32_f64_e32 v1, v[9:10]
	v_and_b32_e32 v9, 0x7f800000, v1
	v_cmp_ne_u32_sdwa s[0:1], v1, v2 src0_sel:WORD_0 src1_sel:DWORD
	v_cmp_eq_u32_e32 vcc, s60, v9
	s_and_b64 s[0:1], vcc, s[0:1]
	v_cndmask_b32_e64 v9, 0, 1, s[0:1]
	v_or_b32_sdwa v1, v1, v9 dst_sel:DWORD dst_unused:UNUSED_PAD src0_sel:WORD_1 src1_sel:DWORD
	global_store_short v[7:8], v1, off
	s_mov_b64 s[0:1], 0
.LBB40_18:                              ;   in Loop: Header=BB40_3 Depth=1
	s_andn2_b64 vcc, exec, s[0:1]
	s_cbranch_vccnz .LBB40_2
; %bb.19:                               ;   in Loop: Header=BB40_3 Depth=1
	v_cvt_f32_f64_e32 v1, v[3:4]
	v_mov_b32_e32 v4, s47
	v_and_b32_e32 v3, 0x7f800000, v1
	v_cmp_ne_u32_sdwa s[0:1], v1, v2 src0_sel:WORD_0 src1_sel:DWORD
	v_cmp_eq_u32_e32 vcc, s60, v3
	s_and_b64 s[0:1], vcc, s[0:1]
	v_cndmask_b32_e64 v3, 0, 1, s[0:1]
	v_or_b32_sdwa v1, v1, v3 dst_sel:DWORD dst_unused:UNUSED_PAD src0_sel:WORD_1 src1_sel:DWORD
	v_add_co_u32_e32 v3, vcc, s46, v5
	v_addc_co_u32_e32 v4, vcc, v4, v6, vcc
	global_store_short v[3:4], v1, off
	s_branch .LBB40_2
.LBB40_20:
	s_endpgm
	.section	.rodata,"a",@progbits
	.p2align	6, 0x0
	.amdhsa_kernel naive_conv_ab_packed_wrw_nchw_ushort_double_ushort
		.amdhsa_group_segment_fixed_size 0
		.amdhsa_private_segment_fixed_size 0
		.amdhsa_kernarg_size 480
		.amdhsa_user_sgpr_count 6
		.amdhsa_user_sgpr_private_segment_buffer 1
		.amdhsa_user_sgpr_dispatch_ptr 0
		.amdhsa_user_sgpr_queue_ptr 0
		.amdhsa_user_sgpr_kernarg_segment_ptr 1
		.amdhsa_user_sgpr_dispatch_id 0
		.amdhsa_user_sgpr_flat_scratch_init 0
		.amdhsa_user_sgpr_private_segment_size 0
		.amdhsa_uses_dynamic_stack 0
		.amdhsa_system_sgpr_private_segment_wavefront_offset 0
		.amdhsa_system_sgpr_workgroup_id_x 1
		.amdhsa_system_sgpr_workgroup_id_y 0
		.amdhsa_system_sgpr_workgroup_id_z 0
		.amdhsa_system_sgpr_workgroup_info 0
		.amdhsa_system_vgpr_workitem_id 0
		.amdhsa_next_free_vgpr 22
		.amdhsa_next_free_sgpr 66
		.amdhsa_reserve_vcc 1
		.amdhsa_reserve_flat_scratch 0
		.amdhsa_float_round_mode_32 0
		.amdhsa_float_round_mode_16_64 0
		.amdhsa_float_denorm_mode_32 3
		.amdhsa_float_denorm_mode_16_64 3
		.amdhsa_dx10_clamp 1
		.amdhsa_ieee_mode 1
		.amdhsa_fp16_overflow 0
		.amdhsa_exception_fp_ieee_invalid_op 0
		.amdhsa_exception_fp_denorm_src 0
		.amdhsa_exception_fp_ieee_div_zero 0
		.amdhsa_exception_fp_ieee_overflow 0
		.amdhsa_exception_fp_ieee_underflow 0
		.amdhsa_exception_fp_ieee_inexact 0
		.amdhsa_exception_int_div_zero 0
	.end_amdhsa_kernel
	.text
.Lfunc_end40:
	.size	naive_conv_ab_packed_wrw_nchw_ushort_double_ushort, .Lfunc_end40-naive_conv_ab_packed_wrw_nchw_ushort_double_ushort
                                        ; -- End function
	.set naive_conv_ab_packed_wrw_nchw_ushort_double_ushort.num_vgpr, 22
	.set naive_conv_ab_packed_wrw_nchw_ushort_double_ushort.num_agpr, 0
	.set naive_conv_ab_packed_wrw_nchw_ushort_double_ushort.numbered_sgpr, 66
	.set naive_conv_ab_packed_wrw_nchw_ushort_double_ushort.num_named_barrier, 0
	.set naive_conv_ab_packed_wrw_nchw_ushort_double_ushort.private_seg_size, 0
	.set naive_conv_ab_packed_wrw_nchw_ushort_double_ushort.uses_vcc, 1
	.set naive_conv_ab_packed_wrw_nchw_ushort_double_ushort.uses_flat_scratch, 0
	.set naive_conv_ab_packed_wrw_nchw_ushort_double_ushort.has_dyn_sized_stack, 0
	.set naive_conv_ab_packed_wrw_nchw_ushort_double_ushort.has_recursion, 0
	.set naive_conv_ab_packed_wrw_nchw_ushort_double_ushort.has_indirect_call, 0
	.section	.AMDGPU.csdata,"",@progbits
; Kernel info:
; codeLenInByte = 1652
; TotalNumSgprs: 70
; NumVgprs: 22
; ScratchSize: 0
; MemoryBound: 0
; FloatMode: 240
; IeeeMode: 1
; LDSByteSize: 0 bytes/workgroup (compile time only)
; SGPRBlocks: 8
; VGPRBlocks: 5
; NumSGPRsForWavesPerEU: 70
; NumVGPRsForWavesPerEU: 22
; Occupancy: 10
; WaveLimiterHint : 0
; COMPUTE_PGM_RSRC2:SCRATCH_EN: 0
; COMPUTE_PGM_RSRC2:USER_SGPR: 6
; COMPUTE_PGM_RSRC2:TRAP_HANDLER: 0
; COMPUTE_PGM_RSRC2:TGID_X_EN: 1
; COMPUTE_PGM_RSRC2:TGID_Y_EN: 0
; COMPUTE_PGM_RSRC2:TGID_Z_EN: 0
; COMPUTE_PGM_RSRC2:TIDIG_COMP_CNT: 0
	.text
	.protected	naive_conv_ab_nonpacked_wrw_nchw_ushort_double_ushort ; -- Begin function naive_conv_ab_nonpacked_wrw_nchw_ushort_double_ushort
	.globl	naive_conv_ab_nonpacked_wrw_nchw_ushort_double_ushort
	.p2align	8
	.type	naive_conv_ab_nonpacked_wrw_nchw_ushort_double_ushort,@function
naive_conv_ab_nonpacked_wrw_nchw_ushort_double_ushort: ; @naive_conv_ab_nonpacked_wrw_nchw_ushort_double_ushort
; %bb.0:
	s_load_dwordx8 s[24:31], s[4:5], 0xa0
	s_load_dwordx4 s[0:3], s[4:5], 0xd0
	s_waitcnt lgkmcnt(0)
	s_abs_i32 s7, s27
	v_cvt_f32_u32_e32 v1, s7
	s_mul_i32 s50, s2, s1
	s_mul_i32 s3, s50, s28
	v_cmp_gt_i32_e32 vcc, s3, v0
	v_rcp_iflag_f32_e32 v1, v1
	v_mul_f32_e32 v1, 0x4f7ffffe, v1
	v_cvt_u32_f32_e32 v1, v1
	v_readfirstlane_b32 s8, v1
	s_and_saveexec_b64 s[10:11], vcc
	s_cbranch_execz .LBB41_20
; %bb.1:
	s_sub_i32 s9, 0, s7
	s_mul_i32 s9, s9, s8
	s_mul_hi_u32 s9, s8, s9
	s_abs_i32 s34, s6
	s_add_i32 s8, s8, s9
	s_ashr_i32 s28, s6, 31
	s_ashr_i32 s33, s27, 31
	s_mul_hi_u32 s35, s34, s8
	s_xor_b32 s28, s28, s33
	s_mul_i32 s33, s35, s7
	s_sub_i32 s33, s34, s33
	s_add_i32 s34, s35, 1
	s_sub_i32 s48, s33, s7
	s_cmp_ge_u32 s33, s7
	s_cselect_b32 s34, s34, s35
	s_cselect_b32 s33, s48, s33
	s_add_i32 s35, s34, 1
	s_cmp_ge_u32 s33, s7
	s_load_dwordx16 s[8:23], s[4:5], 0x28
	s_load_dwordx4 s[44:47], s[4:5], 0x88
	s_cselect_b32 s7, s35, s34
	s_xor_b32 s7, s7, s28
	s_sub_i32 s33, s7, s28
	s_load_dwordx8 s[36:43], s[4:5], 0x0
	s_mul_i32 s7, s33, s27
	s_ashr_i32 s34, s33, 31
	s_load_dwordx8 s[52:59], s[4:5], 0x68
	s_sub_i32 s48, s6, s7
	s_waitcnt lgkmcnt(0)
	s_mul_i32 s6, s14, s34
	s_mul_hi_u32 s7, s14, s33
	s_add_i32 s6, s7, s6
	s_mul_i32 s7, s15, s33
	s_add_i32 s7, s6, s7
	s_mul_i32 s6, s14, s33
	s_lshl_b64 s[6:7], s[6:7], 1
	s_add_u32 s27, s36, s6
	s_mul_i32 s15, s46, s34
	s_mul_i32 s34, s54, s34
	s_mul_hi_u32 s35, s54, s33
	s_addc_u32 s28, s37, s7
	s_ashr_i32 s7, s48, 31
	s_add_i32 s34, s35, s34
	s_mul_i32 s35, s55, s33
	s_mul_hi_u32 s49, s46, s33
	s_mul_i32 s47, s47, s33
	s_mul_i32 s6, s46, s33
	;; [unrolled: 1-line block ×3, first 2 shown]
	s_add_i32 s35, s34, s35
	s_mul_i32 s34, s54, s33
	s_mul_i32 s7, s52, s7
	s_mul_hi_u32 s33, s52, s48
	s_add_i32 s7, s33, s7
	s_mul_i32 s33, s53, s48
	s_add_i32 s37, s7, s33
	s_lshl_b64 s[34:35], s[34:35], 1
	s_mul_i32 s36, s52, s48
	s_add_u32 s7, s38, s34
	s_addc_u32 s38, s39, s35
	s_lshl_b64 s[34:35], s[36:37], 1
	s_add_u32 s33, s7, s34
	s_load_dwordx2 s[60:61], s[4:5], 0x98
	s_addc_u32 s62, s38, s35
	s_load_dwordx2 s[34:35], s[4:5], 0x20
	s_mul_hi_u32 s51, s44, s48
	s_add_i32 s7, s49, s15
	s_mul_i32 s45, s45, s48
	s_add_i32 s7, s7, s47
	s_add_i32 s15, s51, s46
	;; [unrolled: 1-line block ×3, first 2 shown]
	s_lshl_b64 s[6:7], s[6:7], 1
	s_mul_i32 s14, s44, s48
	s_waitcnt lgkmcnt(0)
	s_add_u32 s34, s34, s6
	s_addc_u32 s35, s35, s7
	s_lshl_b64 s[6:7], s[14:15], 1
	s_add_u32 s14, s34, s6
	s_addc_u32 s15, s35, s7
	s_cmp_lt_i32 s26, 1
	s_cselect_b64 s[34:35], -1, 0
	s_cmp_gt_i32 s29, 0
	s_cselect_b64 s[36:37], -1, 0
	s_cmp_gt_i32 s30, 0
	s_cselect_b64 s[38:39], -1, 0
	s_abs_i32 s63, s2
	v_cvt_f32_u32_e32 v1, s63
	s_abs_i32 s64, s1
	v_cvt_f32_u32_e32 v2, s64
	s_abs_i32 s65, s50
	v_rcp_iflag_f32_e32 v1, v1
	v_cvt_f32_u32_e32 v5, s65
	v_rcp_iflag_f32_e32 v2, v2
	s_sub_i32 s1, 0, s63
	v_mul_f32_e32 v1, 0x4f7ffffe, v1
	v_rcp_iflag_f32_e32 v5, v5
	v_cvt_u32_f32_e32 v1, v1
	v_mul_f32_e32 v2, 0x4f7ffffe, v2
	v_cvt_u32_f32_e32 v2, v2
	v_mul_f32_e32 v5, 0x4f7ffffe, v5
	v_cmp_neq_f64_e64 s[6:7], s[40:41], 1.0
	v_cmp_neq_f64_e64 s[48:49], s[42:43], 0
	v_mul_lo_u32 v3, s1, v1
	v_cvt_u32_f32_e32 v8, v5
	s_sub_i32 s1, 0, s64
	v_mul_lo_u32 v4, s1, v2
	s_sub_i32 s1, 0, s65
	v_mul_lo_u32 v6, s1, v8
	v_mul_hi_u32 v3, v1, v3
	s_or_b64 s[48:49], s[6:7], s[48:49]
	s_load_dword s1, s[4:5], 0xec
	s_nop 0
	s_load_dwordx4 s[4:7], s[4:5], 0xc0
	v_mul_hi_u32 v4, v2, v4
	v_add_u32_e32 v5, v1, v3
	v_mul_hi_u32 v1, v8, v6
	s_lshl_b64 s[44:45], s[58:59], 1
	s_lshl_b64 s[46:47], s[56:57], 1
	s_waitcnt lgkmcnt(0)
	s_and_b32 s66, s1, 0xffff
	v_mov_b32_e32 v6, 0
	v_add_u32_e32 v7, v2, v4
	s_ashr_i32 s67, s50, 31
	v_add_u32_e32 v8, v8, v1
	s_lshl_b64 s[50:51], s[60:61], 1
	s_ashr_i32 s68, s2, 31
	s_sub_i32 s69, 0, s0
	s_mov_b32 s70, 0x7f800000
	s_mov_b64 s[52:53], 0
	s_branch .LBB41_3
.LBB41_2:                               ;   in Loop: Header=BB41_3 Depth=1
	v_add_u32_e32 v0, s66, v0
	v_cmp_le_i32_e32 vcc, s3, v0
	s_or_b64 s[52:53], vcc, s[52:53]
	s_andn2_b64 exec, exec, s[52:53]
	s_cbranch_execz .LBB41_20
.LBB41_3:                               ; =>This Loop Header: Depth=1
                                        ;     Child Loop BB41_8 Depth 2
                                        ;       Child Loop BB41_11 Depth 3
                                        ;         Child Loop BB41_14 Depth 4
	v_sub_u32_e32 v1, 0, v0
	v_max_i32_e32 v2, v0, v1
	v_mul_hi_u32 v1, v2, v5
	v_ashrrev_i32_e32 v4, 31, v0
	v_xor_b32_e32 v9, s68, v4
	v_xor_b32_e32 v4, s67, v4
	v_mul_lo_u32 v3, v1, s63
	v_add_u32_e32 v10, 1, v1
	s_mov_b64 s[54:55], -1
	v_sub_u32_e32 v3, v2, v3
	v_cmp_le_u32_e32 vcc, s63, v3
	v_cndmask_b32_e32 v1, v1, v10, vcc
	v_subrev_u32_e32 v10, s63, v3
	v_cndmask_b32_e32 v3, v3, v10, vcc
	v_add_u32_e32 v10, 1, v1
	v_cmp_le_u32_e32 vcc, s63, v3
	v_cndmask_b32_e32 v1, v1, v10, vcc
	v_xor_b32_e32 v1, v1, v9
	v_sub_u32_e32 v1, v1, v9
	v_sub_u32_e32 v3, 0, v1
	v_max_i32_e32 v3, v1, v3
	v_mul_hi_u32 v9, v2, v8
	v_mul_hi_u32 v10, v3, v7
	v_mul_lo_u32 v11, v9, s65
	v_mul_lo_u32 v10, v10, s64
	v_sub_u32_e32 v11, v2, v11
	v_sub_u32_e32 v2, v3, v10
	v_subrev_u32_e32 v3, s64, v2
	v_cmp_le_u32_e32 vcc, s64, v2
	v_cndmask_b32_e32 v2, v2, v3, vcc
	v_add_u32_e32 v3, 1, v9
	v_cmp_le_u32_e32 vcc, s65, v11
	v_cndmask_b32_e32 v3, v9, v3, vcc
	v_subrev_u32_e32 v9, s65, v11
	v_cndmask_b32_e32 v9, v11, v9, vcc
	v_add_u32_e32 v10, 1, v3
	v_cmp_le_u32_e32 vcc, s65, v9
	v_cndmask_b32_e32 v3, v3, v10, vcc
	v_xor_b32_e32 v3, v3, v4
	v_sub_u32_e32 v3, v3, v4
	v_cmp_le_u32_e64 s[0:1], s64, v2
	s_andn2_b64 vcc, exec, s[34:35]
	v_ashrrev_i32_e32 v4, 31, v3
	s_cbranch_vccnz .LBB41_5
; %bb.4:                                ;   in Loop: Header=BB41_3 Depth=1
	s_mov_b64 s[54:55], 0
.LBB41_5:                               ;   in Loop: Header=BB41_3 Depth=1
	v_mul_lo_u32 v9, v1, s2
	v_ashrrev_i32_e32 v10, 31, v1
	v_subrev_u32_e32 v1, s64, v2
	v_cndmask_b32_e64 v1, v2, v1, s[0:1]
	v_xor_b32_e32 v11, v1, v10
	v_mov_b32_e32 v1, 0
	v_sub_u32_e32 v9, v0, v9
	v_mov_b32_e32 v2, 0
	s_andn2_b64 vcc, exec, s[54:55]
	v_sub_u32_e32 v10, v11, v10
	s_cbranch_vccnz .LBB41_16
; %bb.6:                                ;   in Loop: Header=BB41_3 Depth=1
	v_mul_lo_u32 v12, s13, v3
	v_mul_lo_u32 v13, s12, v4
	v_mad_u64_u32 v[1:2], s[0:1], s12, v3, 0
	v_mul_lo_u32 v14, v9, s6
	v_mul_lo_u32 v11, v10, s5
	v_add3_u32 v2, v2, v13, v12
	v_lshlrev_b64 v[1:2], 1, v[1:2]
	v_mov_b32_e32 v13, s28
	v_add_co_u32_e32 v12, vcc, s27, v1
	v_addc_co_u32_e32 v13, vcc, v13, v2, vcc
	v_mov_b32_e32 v1, 0
	v_add_u32_e32 v14, s69, v14
	v_mov_b32_e32 v2, 0
	s_mov_b32 s71, 0
	s_mov_b64 s[54:55], s[14:15]
	s_branch .LBB41_8
.LBB41_7:                               ;   in Loop: Header=BB41_8 Depth=2
	s_add_i32 s71, s71, 1
	s_add_u32 s54, s54, s50
	s_addc_u32 s55, s55, s51
	s_cmp_eq_u32 s71, s26
	s_cbranch_scc1 .LBB41_16
.LBB41_8:                               ;   Parent Loop BB41_3 Depth=1
                                        ; =>  This Loop Header: Depth=2
                                        ;       Child Loop BB41_11 Depth 3
                                        ;         Child Loop BB41_14 Depth 4
	s_andn2_b64 vcc, exec, s[36:37]
	s_cbranch_vccnz .LBB41_7
; %bb.9:                                ;   in Loop: Header=BB41_8 Depth=2
	s_mul_i32 s0, s17, s71
	s_mul_hi_u32 s1, s16, s71
	s_add_i32 s1, s1, s0
	s_mul_i32 s0, s16, s71
	s_lshl_b64 s[0:1], s[0:1], 1
	v_mov_b32_e32 v16, s1
	v_add_co_u32_e32 v15, vcc, s0, v12
	v_addc_co_u32_e32 v16, vcc, v13, v16, vcc
	s_mov_b32 s72, 0
	s_mov_b64 s[56:57], s[54:55]
	s_branch .LBB41_11
.LBB41_10:                              ;   in Loop: Header=BB41_11 Depth=3
	s_add_i32 s72, s72, 1
	s_add_u32 s56, s56, s44
	s_addc_u32 s57, s57, s45
	s_cmp_eq_u32 s72, s29
	s_cbranch_scc1 .LBB41_7
.LBB41_11:                              ;   Parent Loop BB41_3 Depth=1
                                        ;     Parent Loop BB41_8 Depth=2
                                        ; =>    This Loop Header: Depth=3
                                        ;         Child Loop BB41_14 Depth 4
	s_andn2_b64 vcc, exec, s[38:39]
	s_cbranch_vccnz .LBB41_10
; %bb.12:                               ;   in Loop: Header=BB41_11 Depth=3
	s_mul_i32 s0, s72, s31
	s_sub_i32 s0, s0, s7
	v_add_u32_e32 v20, s0, v11
	v_mad_u64_u32 v[17:18], s[0:1], s10, v20, 0
	v_cmp_gt_i32_e32 vcc, 0, v20
	s_mov_b64 s[60:61], s[56:57]
	v_mad_u64_u32 v[18:19], s[0:1], s11, v20, v[18:19]
	v_cmp_le_i32_e64 s[0:1], s24, v20
	s_or_b64 s[58:59], vcc, s[0:1]
	v_lshlrev_b64 v[17:18], 1, v[17:18]
	v_mov_b32_e32 v19, v14
	v_add_co_u32_e32 v17, vcc, v15, v17
	v_addc_co_u32_e32 v18, vcc, v16, v18, vcc
	s_mov_b32 s73, s30
	s_branch .LBB41_14
.LBB41_13:                              ;   in Loop: Header=BB41_14 Depth=4
	s_or_b64 exec, exec, s[0:1]
	s_add_i32 s73, s73, -1
	s_add_u32 s60, s60, s46
	s_addc_u32 s61, s61, s47
	s_cmp_eq_u32 s73, 0
	v_add_u32_e32 v19, s4, v19
	s_cbranch_scc1 .LBB41_10
.LBB41_14:                              ;   Parent Loop BB41_3 Depth=1
                                        ;     Parent Loop BB41_8 Depth=2
                                        ;       Parent Loop BB41_11 Depth=3
                                        ; =>      This Inner Loop Header: Depth=4
	v_cmp_gt_i32_e32 vcc, 0, v19
	v_cmp_le_i32_e64 s[0:1], s25, v19
	s_or_b64 s[0:1], vcc, s[0:1]
	s_nor_b64 s[74:75], s[58:59], s[0:1]
	s_and_saveexec_b64 s[0:1], s[74:75]
	s_cbranch_execz .LBB41_13
; %bb.15:                               ;   in Loop: Header=BB41_14 Depth=4
	v_mad_u64_u32 v[20:21], s[74:75], s8, v19, 0
	v_mad_u64_u32 v[21:22], s[74:75], s9, v19, v[21:22]
	global_load_ushort v22, v6, s[60:61]
	v_lshlrev_b64 v[20:21], 1, v[20:21]
	v_add_co_u32_e32 v20, vcc, v17, v20
	v_addc_co_u32_e32 v21, vcc, v18, v21, vcc
	global_load_ushort v20, v[20:21], off
	s_waitcnt vmcnt(1)
	v_lshlrev_b32_e32 v22, 16, v22
	v_cvt_f64_f32_e32 v[22:23], v22
	s_waitcnt vmcnt(0)
	v_lshlrev_b32_e32 v20, 16, v20
	v_cvt_f64_f32_e32 v[20:21], v20
	v_fma_f64 v[1:2], v[20:21], v[22:23], v[1:2]
	s_branch .LBB41_13
.LBB41_16:                              ;   in Loop: Header=BB41_3 Depth=1
	v_ashrrev_i32_e32 v11, 31, v9
	v_mul_lo_u32 v13, s19, v9
	v_mul_lo_u32 v14, s18, v11
	v_mad_u64_u32 v[11:12], s[0:1], s18, v9, 0
	v_ashrrev_i32_e32 v9, 31, v10
	v_mul_lo_u32 v9, s20, v9
	v_add3_u32 v12, v12, v14, v13
	v_mad_u64_u32 v[11:12], s[0:1], s20, v10, v[11:12]
	v_mul_lo_u32 v10, s21, v10
	v_mul_lo_u32 v4, v4, s22
	s_and_b64 vcc, exec, s[48:49]
	v_add3_u32 v12, v10, v12, v9
	v_mad_u64_u32 v[9:10], s[0:1], v3, s22, v[11:12]
	v_mul_lo_u32 v3, v3, s23
	s_mov_b64 s[0:1], -1
	v_add3_u32 v10, v4, v10, v3
	v_lshlrev_b64 v[3:4], 1, v[9:10]
	s_cbranch_vccz .LBB41_18
; %bb.17:                               ;   in Loop: Header=BB41_3 Depth=1
	v_mov_b32_e32 v10, s62
	v_add_co_u32_e32 v9, vcc, s33, v3
	v_addc_co_u32_e32 v10, vcc, v10, v4, vcc
	global_load_ushort v11, v[9:10], off
	s_waitcnt vmcnt(0)
	v_lshlrev_b32_e32 v11, 16, v11
	v_cvt_f64_f32_e32 v[11:12], v11
	v_mul_f64 v[11:12], s[42:43], v[11:12]
	v_fma_f64 v[11:12], s[40:41], v[1:2], v[11:12]
	v_cvt_f32_f64_e32 v11, v[11:12]
	v_and_b32_e32 v12, 0x7f800000, v11
	v_cmp_ne_u32_sdwa s[0:1], v11, v6 src0_sel:WORD_0 src1_sel:DWORD
	v_cmp_eq_u32_e32 vcc, s70, v12
	s_and_b64 s[0:1], vcc, s[0:1]
	v_cndmask_b32_e64 v12, 0, 1, s[0:1]
	v_or_b32_sdwa v11, v11, v12 dst_sel:DWORD dst_unused:UNUSED_PAD src0_sel:WORD_1 src1_sel:DWORD
	global_store_short v[9:10], v11, off
	s_mov_b64 s[0:1], 0
.LBB41_18:                              ;   in Loop: Header=BB41_3 Depth=1
	s_andn2_b64 vcc, exec, s[0:1]
	s_cbranch_vccnz .LBB41_2
; %bb.19:                               ;   in Loop: Header=BB41_3 Depth=1
	v_cvt_f32_f64_e32 v1, v[1:2]
	v_mov_b32_e32 v2, s62
	v_and_b32_e32 v9, 0x7f800000, v1
	v_cmp_ne_u32_sdwa s[0:1], v1, v6 src0_sel:WORD_0 src1_sel:DWORD
	v_cmp_eq_u32_e32 vcc, s70, v9
	s_and_b64 s[0:1], vcc, s[0:1]
	v_cndmask_b32_e64 v9, 0, 1, s[0:1]
	v_or_b32_sdwa v9, v1, v9 dst_sel:DWORD dst_unused:UNUSED_PAD src0_sel:WORD_1 src1_sel:DWORD
	v_add_co_u32_e32 v1, vcc, s33, v3
	v_addc_co_u32_e32 v2, vcc, v2, v4, vcc
	global_store_short v[1:2], v9, off
	s_branch .LBB41_2
.LBB41_20:
	s_endpgm
	.section	.rodata,"a",@progbits
	.p2align	6, 0x0
	.amdhsa_kernel naive_conv_ab_nonpacked_wrw_nchw_ushort_double_ushort
		.amdhsa_group_segment_fixed_size 0
		.amdhsa_private_segment_fixed_size 0
		.amdhsa_kernarg_size 480
		.amdhsa_user_sgpr_count 6
		.amdhsa_user_sgpr_private_segment_buffer 1
		.amdhsa_user_sgpr_dispatch_ptr 0
		.amdhsa_user_sgpr_queue_ptr 0
		.amdhsa_user_sgpr_kernarg_segment_ptr 1
		.amdhsa_user_sgpr_dispatch_id 0
		.amdhsa_user_sgpr_flat_scratch_init 0
		.amdhsa_user_sgpr_private_segment_size 0
		.amdhsa_uses_dynamic_stack 0
		.amdhsa_system_sgpr_private_segment_wavefront_offset 0
		.amdhsa_system_sgpr_workgroup_id_x 1
		.amdhsa_system_sgpr_workgroup_id_y 0
		.amdhsa_system_sgpr_workgroup_id_z 0
		.amdhsa_system_sgpr_workgroup_info 0
		.amdhsa_system_vgpr_workitem_id 0
		.amdhsa_next_free_vgpr 24
		.amdhsa_next_free_sgpr 76
		.amdhsa_reserve_vcc 1
		.amdhsa_reserve_flat_scratch 0
		.amdhsa_float_round_mode_32 0
		.amdhsa_float_round_mode_16_64 0
		.amdhsa_float_denorm_mode_32 3
		.amdhsa_float_denorm_mode_16_64 3
		.amdhsa_dx10_clamp 1
		.amdhsa_ieee_mode 1
		.amdhsa_fp16_overflow 0
		.amdhsa_exception_fp_ieee_invalid_op 0
		.amdhsa_exception_fp_denorm_src 0
		.amdhsa_exception_fp_ieee_div_zero 0
		.amdhsa_exception_fp_ieee_overflow 0
		.amdhsa_exception_fp_ieee_underflow 0
		.amdhsa_exception_fp_ieee_inexact 0
		.amdhsa_exception_int_div_zero 0
	.end_amdhsa_kernel
	.text
.Lfunc_end41:
	.size	naive_conv_ab_nonpacked_wrw_nchw_ushort_double_ushort, .Lfunc_end41-naive_conv_ab_nonpacked_wrw_nchw_ushort_double_ushort
                                        ; -- End function
	.set naive_conv_ab_nonpacked_wrw_nchw_ushort_double_ushort.num_vgpr, 24
	.set naive_conv_ab_nonpacked_wrw_nchw_ushort_double_ushort.num_agpr, 0
	.set naive_conv_ab_nonpacked_wrw_nchw_ushort_double_ushort.numbered_sgpr, 76
	.set naive_conv_ab_nonpacked_wrw_nchw_ushort_double_ushort.num_named_barrier, 0
	.set naive_conv_ab_nonpacked_wrw_nchw_ushort_double_ushort.private_seg_size, 0
	.set naive_conv_ab_nonpacked_wrw_nchw_ushort_double_ushort.uses_vcc, 1
	.set naive_conv_ab_nonpacked_wrw_nchw_ushort_double_ushort.uses_flat_scratch, 0
	.set naive_conv_ab_nonpacked_wrw_nchw_ushort_double_ushort.has_dyn_sized_stack, 0
	.set naive_conv_ab_nonpacked_wrw_nchw_ushort_double_ushort.has_recursion, 0
	.set naive_conv_ab_nonpacked_wrw_nchw_ushort_double_ushort.has_indirect_call, 0
	.section	.AMDGPU.csdata,"",@progbits
; Kernel info:
; codeLenInByte = 1664
; TotalNumSgprs: 80
; NumVgprs: 24
; ScratchSize: 0
; MemoryBound: 0
; FloatMode: 240
; IeeeMode: 1
; LDSByteSize: 0 bytes/workgroup (compile time only)
; SGPRBlocks: 9
; VGPRBlocks: 5
; NumSGPRsForWavesPerEU: 80
; NumVGPRsForWavesPerEU: 24
; Occupancy: 10
; WaveLimiterHint : 0
; COMPUTE_PGM_RSRC2:SCRATCH_EN: 0
; COMPUTE_PGM_RSRC2:USER_SGPR: 6
; COMPUTE_PGM_RSRC2:TRAP_HANDLER: 0
; COMPUTE_PGM_RSRC2:TGID_X_EN: 1
; COMPUTE_PGM_RSRC2:TGID_Y_EN: 0
; COMPUTE_PGM_RSRC2:TGID_Z_EN: 0
; COMPUTE_PGM_RSRC2:TIDIG_COMP_CNT: 0
	.text
	.protected	naive_conv_ab_packed_wrw_nhwc_float_double_float ; -- Begin function naive_conv_ab_packed_wrw_nhwc_float_double_float
	.globl	naive_conv_ab_packed_wrw_nhwc_float_double_float
	.p2align	8
	.type	naive_conv_ab_packed_wrw_nhwc_float_double_float,@function
naive_conv_ab_packed_wrw_nhwc_float_double_float: ; @naive_conv_ab_packed_wrw_nhwc_float_double_float
; %bb.0:
	s_load_dwordx16 s[8:23], s[4:5], 0xa0
	s_waitcnt lgkmcnt(0)
	s_abs_i32 s3, s11
	v_cvt_f32_u32_e32 v1, s3
	s_mul_i32 s2, s22, s12
	s_mul_i32 s33, s2, s21
	v_cmp_gt_i32_e32 vcc, s33, v0
	v_rcp_iflag_f32_e32 v1, v1
	v_mul_f32_e32 v1, 0x4f7ffffe, v1
	v_cvt_u32_f32_e32 v1, v1
	v_readfirstlane_b32 s7, v1
	s_and_saveexec_b64 s[0:1], vcc
	s_cbranch_execz .LBB42_18
; %bb.1:
	s_sub_i32 s37, 0, s3
	s_mul_i32 s37, s37, s7
	s_mul_hi_u32 s37, s7, s37
	s_abs_i32 s36, s6
	s_add_i32 s7, s7, s37
	s_ashr_i32 s34, s6, 31
	s_ashr_i32 s35, s11, 31
	s_mul_hi_u32 s7, s36, s7
	s_xor_b32 s34, s34, s35
	s_mul_i32 s35, s7, s3
	s_sub_i32 s35, s36, s35
	s_add_i32 s36, s7, 1
	s_sub_i32 s37, s35, s3
	s_cmp_ge_u32 s35, s3
	s_cselect_b32 s7, s36, s7
	s_cselect_b32 s35, s37, s35
	s_add_i32 s36, s7, 1
	s_cmp_ge_u32 s35, s3
	s_cselect_b32 s3, s36, s7
	s_load_dwordx8 s[24:31], s[4:5], 0x0
	s_load_dwordx2 s[0:1], s[4:5], 0x20
	s_xor_b32 s3, s3, s34
	s_sub_i32 s3, s3, s34
	s_mul_i32 s34, s3, s11
	s_mul_hi_i32 s37, s3, s12
	s_mul_i32 s36, s3, s12
	s_sub_i32 s6, s6, s34
	s_ashr_i32 s48, s12, 31
	s_lshl_b64 s[36:37], s[36:37], 2
	s_waitcnt lgkmcnt(0)
	s_add_u32 s50, s24, s36
	s_addc_u32 s51, s25, s37
	s_mul_hi_i32 s35, s3, s11
	s_ashr_i32 s3, s22, 31
	s_ashr_i32 s7, s6, 31
	s_mul_hi_i32 s36, s21, s12
	s_mul_i32 s21, s21, s12
	s_add_u32 s24, s34, s6
	s_mul_i32 s3, s21, s3
	s_mul_hi_u32 s37, s21, s22
	s_addc_u32 s25, s35, s7
	s_add_i32 s3, s37, s3
	s_mul_i32 s36, s36, s22
	s_mul_i32 s21, s21, s22
	s_add_i32 s3, s3, s36
	s_mul_i32 s25, s21, s25
	s_mul_hi_u32 s36, s21, s24
	s_add_i32 s25, s36, s25
	s_mul_i32 s3, s3, s24
	s_add_i32 s25, s25, s3
	s_mul_i32 s24, s21, s24
	s_lshl_b64 s[24:25], s[24:25], 2
	s_add_u32 s52, s26, s24
	s_addc_u32 s53, s27, s25
	s_lshl_b64 s[24:25], s[34:35], 2
	s_load_dword s3, s[4:5], 0xec
	s_add_u32 s4, s0, s24
	s_addc_u32 s5, s1, s25
	s_lshl_b64 s[0:1], s[6:7], 2
	s_add_u32 s6, s4, s0
	s_addc_u32 s7, s5, s1
	s_cmp_lt_i32 s10, 1
	s_cselect_b64 s[24:25], -1, 0
	s_cmp_gt_i32 s13, 0
	s_cselect_b64 s[26:27], -1, 0
	s_cmp_gt_i32 s14, 0
	s_mov_b32 s49, s12
	s_mul_i32 s54, s23, s12
	s_cselect_b64 s[34:35], -1, 0
	s_abs_i32 s12, s12
	v_cvt_f32_u32_e32 v1, s12
	s_abs_i32 s58, s22
	v_cvt_f32_u32_e32 v2, s58
	;; [unrolled: 2-line block ×3, first 2 shown]
	v_cmp_neq_f64_e64 s[4:5], s[28:29], 1.0
	v_cmp_neq_f64_e64 s[38:39], s[30:31], 0
	v_rcp_iflag_f32_e32 v1, v1
	v_rcp_iflag_f32_e32 v2, v2
	;; [unrolled: 1-line block ×3, first 2 shown]
	s_mul_i32 s0, s23, s11
	v_mul_f32_e32 v1, 0x4f7ffffe, v1
	v_cvt_u32_f32_e32 v1, v1
	v_mul_f32_e32 v2, 0x4f7ffffe, v2
	v_cvt_u32_f32_e32 v2, v2
	;; [unrolled: 2-line block ×3, first 2 shown]
	s_or_b64 s[38:39], s[4:5], s[38:39]
	s_sub_i32 s4, 0, s12
	v_mul_lo_u32 v4, s4, v1
	s_sub_i32 s4, 0, s58
	v_mul_lo_u32 v5, s4, v2
	;; [unrolled: 2-line block ×3, first 2 shown]
	s_ashr_i32 s21, s13, 31
	s_ashr_i32 s61, s2, 31
	s_mul_i32 s2, s14, s0
	v_mul_hi_u32 v4, v1, v4
	v_mul_hi_u32 v5, v2, v5
	s_waitcnt lgkmcnt(0)
	s_and_b32 s60, s3, 0xffff
	v_mul_hi_u32 v6, v3, v6
	s_mul_i32 s3, s2, s21
	s_mul_hi_u32 s4, s2, s13
	s_add_i32 s4, s4, s3
	s_mul_hi_i32 s3, s14, s0
	s_mul_i32 s5, s3, s13
	s_ashr_i32 s1, s0, 31
	s_add_i32 s5, s4, s5
	s_mul_i32 s4, s2, s13
	s_ashr_i32 s11, s8, 31
	s_mov_b32 s23, s8
	s_ashr_i32 s55, s9, 31
	s_mov_b32 s56, s9
	s_ashr_i32 s57, s54, 31
	s_mov_b64 s[36:37], 0
	v_add_u32_e32 v8, v1, v4
	v_add_u32_e32 v9, v2, v5
	;; [unrolled: 1-line block ×3, first 2 shown]
	s_lshl_b64 s[40:41], s[4:5], 2
	s_lshl_b64 s[42:43], s[2:3], 2
	;; [unrolled: 1-line block ×3, first 2 shown]
	s_sub_i32 s62, 0, s20
	s_branch .LBB42_3
.LBB42_2:                               ;   in Loop: Header=BB42_3 Depth=1
	v_cvt_f32_f64_e32 v3, v[3:4]
	v_add_u32_e32 v0, s60, v0
	v_cmp_le_i32_e32 vcc, s33, v0
	s_or_b64 s[36:37], vcc, s[36:37]
	global_store_dword v[1:2], v3, off
	s_andn2_b64 exec, exec, s[36:37]
	s_cbranch_execz .LBB42_18
.LBB42_3:                               ; =>This Loop Header: Depth=1
                                        ;     Child Loop BB42_8 Depth 2
                                        ;       Child Loop BB42_11 Depth 3
                                        ;         Child Loop BB42_14 Depth 4
	v_sub_u32_e32 v1, 0, v0
	v_max_i32_e32 v2, v0, v1
	v_mul_hi_u32 v1, v2, v8
	v_ashrrev_i32_e32 v3, 31, v0
	v_xor_b32_e32 v5, s48, v3
	s_mov_b64 s[20:21], -1
	v_mul_lo_u32 v4, v1, s12
	v_add_u32_e32 v6, 1, v1
	v_sub_u32_e32 v4, v2, v4
	v_cmp_le_u32_e32 vcc, s12, v4
	v_cndmask_b32_e32 v1, v1, v6, vcc
	v_subrev_u32_e32 v6, s12, v4
	v_cndmask_b32_e32 v4, v4, v6, vcc
	v_add_u32_e32 v6, 1, v1
	v_cmp_le_u32_e32 vcc, s12, v4
	v_cndmask_b32_e32 v1, v1, v6, vcc
	v_xor_b32_e32 v1, v1, v5
	v_sub_u32_e32 v4, v1, v5
	v_sub_u32_e32 v1, 0, v4
	v_max_i32_e32 v5, v4, v1
	v_mul_hi_u32 v1, v5, v9
	v_mul_hi_u32 v6, v2, v10
	v_mul_lo_u32 v7, v4, s49
	v_mul_lo_u32 v11, v1, s58
	;; [unrolled: 1-line block ×3, first 2 shown]
	v_sub_u32_e32 v1, v0, v7
	v_sub_u32_e32 v5, v5, v11
	v_subrev_u32_e32 v7, s58, v5
	v_cmp_le_u32_e32 vcc, s58, v5
	v_sub_u32_e32 v2, v2, v12
	v_cndmask_b32_e32 v5, v5, v7, vcc
	v_subrev_u32_e32 v7, s59, v2
	v_cmp_le_u32_e64 s[0:1], s59, v2
	v_cndmask_b32_e64 v2, v2, v7, s[0:1]
	v_cmp_le_u32_e64 s[4:5], s58, v5
	v_cmp_le_u32_e64 s[2:3], s59, v2
	s_andn2_b64 vcc, exec, s[24:25]
	v_ashrrev_i32_e32 v2, 31, v1
	s_cbranch_vccnz .LBB42_5
; %bb.4:                                ;   in Loop: Header=BB42_3 Depth=1
	s_mov_b64 s[20:21], 0
.LBB42_5:                               ;   in Loop: Header=BB42_3 Depth=1
	v_subrev_u32_e32 v7, s58, v5
	v_ashrrev_i32_e32 v4, 31, v4
	v_cndmask_b32_e64 v5, v5, v7, s[4:5]
	v_xor_b32_e32 v7, s61, v3
	v_add_u32_e32 v3, 1, v6
	v_xor_b32_e32 v5, v5, v4
	v_cndmask_b32_e64 v3, v6, v3, s[0:1]
	v_sub_u32_e32 v5, v5, v4
	v_add_u32_e32 v4, 1, v3
	v_cndmask_b32_e64 v3, v3, v4, s[2:3]
	v_xor_b32_e32 v6, v3, v7
	v_mov_b32_e32 v3, 0
	v_mov_b32_e32 v4, 0
	s_andn2_b64 vcc, exec, s[20:21]
	v_sub_u32_e32 v11, v6, v7
	s_cbranch_vccnz .LBB42_16
; %bb.6:                                ;   in Loop: Header=BB42_3 Depth=1
	v_mul_lo_u32 v6, v5, s18
	v_lshlrev_b64 v[3:4], 2, v[1:2]
	v_mul_lo_u32 v12, v11, s17
	v_mov_b32_e32 v7, s51
	v_add_co_u32_e32 v13, vcc, s50, v3
	v_addc_co_u32_e32 v14, vcc, v7, v4, vcc
	v_mov_b32_e32 v3, 0
	v_add_u32_e32 v15, s62, v6
	v_mov_b32_e32 v4, 0
	s_mov_b32 s63, 0
	s_mov_b64 s[2:3], s[6:7]
	s_branch .LBB42_8
.LBB42_7:                               ;   in Loop: Header=BB42_8 Depth=2
	s_add_i32 s63, s63, 1
	s_add_u32 s2, s2, s40
	s_addc_u32 s3, s3, s41
	s_cmp_eq_u32 s63, s10
	s_cbranch_scc1 .LBB42_16
.LBB42_8:                               ;   Parent Loop BB42_3 Depth=1
                                        ; =>  This Loop Header: Depth=2
                                        ;       Child Loop BB42_11 Depth 3
                                        ;         Child Loop BB42_14 Depth 4
	s_andn2_b64 vcc, exec, s[26:27]
	s_cbranch_vccnz .LBB42_7
; %bb.9:                                ;   in Loop: Header=BB42_8 Depth=2
	s_mul_i32 s0, s63, s11
	s_mul_hi_u32 s1, s63, s23
	s_add_i32 s64, s1, s0
	s_mul_i32 s65, s63, s23
	s_mov_b32 s66, 0
	s_mov_b64 s[4:5], s[2:3]
	s_branch .LBB42_11
.LBB42_10:                              ;   in Loop: Header=BB42_11 Depth=3
	s_add_i32 s66, s66, 1
	s_add_u32 s4, s4, s42
	s_addc_u32 s5, s5, s43
	s_cmp_eq_u32 s66, s13
	s_cbranch_scc1 .LBB42_7
.LBB42_11:                              ;   Parent Loop BB42_3 Depth=1
                                        ;     Parent Loop BB42_8 Depth=2
                                        ; =>    This Loop Header: Depth=3
                                        ;         Child Loop BB42_14 Depth 4
	s_andn2_b64 vcc, exec, s[34:35]
	s_cbranch_vccnz .LBB42_10
; %bb.12:                               ;   in Loop: Header=BB42_11 Depth=3
	s_mul_i32 s0, s66, s15
	s_sub_i32 s0, s0, s19
	v_add_u32_e32 v16, s0, v12
	v_mov_b32_e32 v6, s64
	v_add_co_u32_e32 v7, vcc, s65, v16
	v_addc_co_u32_e32 v6, vcc, 0, v6, vcc
	v_mul_lo_u32 v17, v6, s56
	v_mul_lo_u32 v18, v7, s55
	v_mad_u64_u32 v[6:7], s[0:1], v7, s56, 0
	v_cmp_gt_i32_e32 vcc, 0, v16
	v_cmp_le_i32_e64 s[0:1], s8, v16
	s_or_b64 s[20:21], vcc, s[0:1]
	v_add3_u32 v7, v7, v18, v17
	v_mov_b32_e32 v16, v15
	s_mov_b64 s[46:47], s[4:5]
	s_mov_b32 s67, s14
	s_branch .LBB42_14
.LBB42_13:                              ;   in Loop: Header=BB42_14 Depth=4
	s_or_b64 exec, exec, s[0:1]
	s_add_i32 s67, s67, -1
	s_add_u32 s46, s46, s44
	s_addc_u32 s47, s47, s45
	s_cmp_eq_u32 s67, 0
	v_add_u32_e32 v16, s16, v16
	s_cbranch_scc1 .LBB42_10
.LBB42_14:                              ;   Parent Loop BB42_3 Depth=1
                                        ;     Parent Loop BB42_8 Depth=2
                                        ;       Parent Loop BB42_11 Depth=3
                                        ; =>      This Inner Loop Header: Depth=4
	v_cmp_gt_i32_e32 vcc, 0, v16
	v_cmp_le_i32_e64 s[0:1], s9, v16
	s_or_b64 s[0:1], vcc, s[0:1]
	s_nor_b64 s[68:69], s[20:21], s[0:1]
	s_and_saveexec_b64 s[0:1], s[68:69]
	s_cbranch_execz .LBB42_13
; %bb.15:                               ;   in Loop: Header=BB42_14 Depth=4
	v_add_co_u32_e32 v17, vcc, v6, v16
	v_addc_co_u32_e32 v18, vcc, 0, v7, vcc
	v_mul_lo_u32 v19, v18, s54
	v_mul_lo_u32 v20, v17, s57
	v_mad_u64_u32 v[17:18], s[68:69], v17, s54, 0
	s_load_dword s68, s[46:47], 0x0
	v_add3_u32 v18, v18, v20, v19
	v_lshlrev_b64 v[17:18], 2, v[17:18]
	v_add_co_u32_e32 v17, vcc, v13, v17
	v_addc_co_u32_e32 v18, vcc, v14, v18, vcc
	global_load_dword v17, v[17:18], off
	s_waitcnt lgkmcnt(0)
	v_cvt_f64_f32_e32 v[19:20], s68
	s_waitcnt vmcnt(0)
	v_cvt_f64_f32_e32 v[17:18], v17
	v_fma_f64 v[3:4], v[17:18], v[19:20], v[3:4]
	s_branch .LBB42_13
.LBB42_16:                              ;   in Loop: Header=BB42_3 Depth=1
	v_ashrrev_i32_e32 v6, 31, v5
	v_mad_i64_i32 v[5:6], s[0:1], v11, s22, v[5:6]
	v_lshlrev_b64 v[1:2], 2, v[1:2]
	v_mov_b32_e32 v12, s53
	v_mul_lo_u32 v7, v6, s49
	v_mul_lo_u32 v11, v5, s48
	v_mad_u64_u32 v[5:6], s[0:1], v5, s49, 0
	v_add3_u32 v6, v6, v11, v7
	v_lshlrev_b64 v[5:6], 2, v[5:6]
	v_add_co_u32_e32 v5, vcc, s52, v5
	v_addc_co_u32_e32 v6, vcc, v12, v6, vcc
	v_add_co_u32_e64 v1, s[0:1], v5, v1
	s_andn2_b64 vcc, exec, s[38:39]
	v_addc_co_u32_e64 v2, s[0:1], v6, v2, s[0:1]
	s_cbranch_vccnz .LBB42_2
; %bb.17:                               ;   in Loop: Header=BB42_3 Depth=1
	global_load_dword v5, v[1:2], off
	s_waitcnt vmcnt(0)
	v_cvt_f64_f32_e32 v[5:6], v5
	v_mul_f64 v[5:6], s[30:31], v[5:6]
	v_fma_f64 v[3:4], s[28:29], v[3:4], v[5:6]
	s_branch .LBB42_2
.LBB42_18:
	s_endpgm
	.section	.rodata,"a",@progbits
	.p2align	6, 0x0
	.amdhsa_kernel naive_conv_ab_packed_wrw_nhwc_float_double_float
		.amdhsa_group_segment_fixed_size 0
		.amdhsa_private_segment_fixed_size 0
		.amdhsa_kernarg_size 480
		.amdhsa_user_sgpr_count 6
		.amdhsa_user_sgpr_private_segment_buffer 1
		.amdhsa_user_sgpr_dispatch_ptr 0
		.amdhsa_user_sgpr_queue_ptr 0
		.amdhsa_user_sgpr_kernarg_segment_ptr 1
		.amdhsa_user_sgpr_dispatch_id 0
		.amdhsa_user_sgpr_flat_scratch_init 0
		.amdhsa_user_sgpr_private_segment_size 0
		.amdhsa_uses_dynamic_stack 0
		.amdhsa_system_sgpr_private_segment_wavefront_offset 0
		.amdhsa_system_sgpr_workgroup_id_x 1
		.amdhsa_system_sgpr_workgroup_id_y 0
		.amdhsa_system_sgpr_workgroup_id_z 0
		.amdhsa_system_sgpr_workgroup_info 0
		.amdhsa_system_vgpr_workitem_id 0
		.amdhsa_next_free_vgpr 21
		.amdhsa_next_free_sgpr 70
		.amdhsa_reserve_vcc 1
		.amdhsa_reserve_flat_scratch 0
		.amdhsa_float_round_mode_32 0
		.amdhsa_float_round_mode_16_64 0
		.amdhsa_float_denorm_mode_32 3
		.amdhsa_float_denorm_mode_16_64 3
		.amdhsa_dx10_clamp 1
		.amdhsa_ieee_mode 1
		.amdhsa_fp16_overflow 0
		.amdhsa_exception_fp_ieee_invalid_op 0
		.amdhsa_exception_fp_denorm_src 0
		.amdhsa_exception_fp_ieee_div_zero 0
		.amdhsa_exception_fp_ieee_overflow 0
		.amdhsa_exception_fp_ieee_underflow 0
		.amdhsa_exception_fp_ieee_inexact 0
		.amdhsa_exception_int_div_zero 0
	.end_amdhsa_kernel
	.text
.Lfunc_end42:
	.size	naive_conv_ab_packed_wrw_nhwc_float_double_float, .Lfunc_end42-naive_conv_ab_packed_wrw_nhwc_float_double_float
                                        ; -- End function
	.set naive_conv_ab_packed_wrw_nhwc_float_double_float.num_vgpr, 21
	.set naive_conv_ab_packed_wrw_nhwc_float_double_float.num_agpr, 0
	.set naive_conv_ab_packed_wrw_nhwc_float_double_float.numbered_sgpr, 70
	.set naive_conv_ab_packed_wrw_nhwc_float_double_float.num_named_barrier, 0
	.set naive_conv_ab_packed_wrw_nhwc_float_double_float.private_seg_size, 0
	.set naive_conv_ab_packed_wrw_nhwc_float_double_float.uses_vcc, 1
	.set naive_conv_ab_packed_wrw_nhwc_float_double_float.uses_flat_scratch, 0
	.set naive_conv_ab_packed_wrw_nhwc_float_double_float.has_dyn_sized_stack, 0
	.set naive_conv_ab_packed_wrw_nhwc_float_double_float.has_recursion, 0
	.set naive_conv_ab_packed_wrw_nhwc_float_double_float.has_indirect_call, 0
	.section	.AMDGPU.csdata,"",@progbits
; Kernel info:
; codeLenInByte = 1452
; TotalNumSgprs: 74
; NumVgprs: 21
; ScratchSize: 0
; MemoryBound: 0
; FloatMode: 240
; IeeeMode: 1
; LDSByteSize: 0 bytes/workgroup (compile time only)
; SGPRBlocks: 9
; VGPRBlocks: 5
; NumSGPRsForWavesPerEU: 74
; NumVGPRsForWavesPerEU: 21
; Occupancy: 10
; WaveLimiterHint : 0
; COMPUTE_PGM_RSRC2:SCRATCH_EN: 0
; COMPUTE_PGM_RSRC2:USER_SGPR: 6
; COMPUTE_PGM_RSRC2:TRAP_HANDLER: 0
; COMPUTE_PGM_RSRC2:TGID_X_EN: 1
; COMPUTE_PGM_RSRC2:TGID_Y_EN: 0
; COMPUTE_PGM_RSRC2:TGID_Z_EN: 0
; COMPUTE_PGM_RSRC2:TIDIG_COMP_CNT: 0
	.text
	.protected	naive_conv_ab_nonpacked_wrw_nhwc_float_double_float ; -- Begin function naive_conv_ab_nonpacked_wrw_nhwc_float_double_float
	.globl	naive_conv_ab_nonpacked_wrw_nhwc_float_double_float
	.p2align	8
	.type	naive_conv_ab_nonpacked_wrw_nhwc_float_double_float,@function
naive_conv_ab_nonpacked_wrw_nhwc_float_double_float: ; @naive_conv_ab_nonpacked_wrw_nhwc_float_double_float
; %bb.0:
	s_load_dwordx8 s[24:31], s[4:5], 0xa0
	s_load_dwordx4 s[0:3], s[4:5], 0xd0
	s_waitcnt lgkmcnt(0)
	s_abs_i32 s7, s27
	v_cvt_f32_u32_e32 v1, s7
	s_mul_i32 s3, s2, s28
	s_mul_i32 s33, s3, s1
	v_cmp_gt_i32_e32 vcc, s33, v0
	v_rcp_iflag_f32_e32 v1, v1
	v_mul_f32_e32 v1, 0x4f7ffffe, v1
	v_cvt_u32_f32_e32 v1, v1
	v_readfirstlane_b32 s1, v1
	s_and_saveexec_b64 s[8:9], vcc
	s_cbranch_execz .LBB43_18
; %bb.1:
	s_sub_i32 s8, 0, s7
	s_mul_i32 s8, s8, s1
	s_mul_hi_u32 s8, s1, s8
	s_abs_i32 s52, s6
	s_add_i32 s1, s1, s8
	s_ashr_i32 s34, s6, 31
	s_ashr_i32 s35, s27, 31
	s_mul_hi_u32 s1, s52, s1
	s_xor_b32 s34, s34, s35
	s_mul_i32 s35, s1, s7
	s_sub_i32 s35, s52, s35
	s_add_i32 s52, s1, 1
	s_sub_i32 s53, s35, s7
	s_cmp_ge_u32 s35, s7
	s_cselect_b32 s1, s52, s1
	s_cselect_b32 s35, s53, s35
	s_add_i32 s52, s1, 1
	s_cmp_ge_u32 s35, s7
	s_load_dwordx16 s[8:23], s[4:5], 0x28
	s_load_dwordx8 s[44:51], s[4:5], 0x68
	s_cselect_b32 s1, s52, s1
	s_xor_b32 s1, s1, s34
	s_sub_i32 s1, s1, s34
	s_load_dwordx8 s[36:43], s[4:5], 0x0
	s_mul_i32 s7, s1, s27
	s_ashr_i32 s34, s1, 31
	s_sub_i32 s35, s6, s7
	s_waitcnt lgkmcnt(0)
	s_mul_i32 s6, s10, s34
	s_mul_hi_u32 s7, s10, s1
	s_add_i32 s6, s7, s6
	s_mul_i32 s7, s11, s1
	s_add_i32 s7, s6, s7
	s_mul_i32 s6, s10, s1
	s_lshl_b64 s[6:7], s[6:7], 2
	s_add_u32 s27, s36, s6
	s_addc_u32 s60, s37, s7
	s_mul_i32 s7, s46, s34
	s_mul_hi_u32 s11, s46, s1
	s_ashr_i32 s6, s35, 31
	s_mul_i32 s36, s47, s1
	s_mul_i32 s37, s44, s6
	s_mul_hi_u32 s52, s44, s35
	s_add_i32 s7, s11, s7
	s_mul_i32 s45, s45, s35
	s_mul_i32 s55, s48, s6
	;; [unrolled: 1-line block ×3, first 2 shown]
	s_add_i32 s7, s7, s36
	s_add_i32 s11, s52, s37
	s_mul_i32 s53, s50, s34
	s_mul_hi_u32 s54, s50, s1
	s_mul_i32 s51, s51, s1
	s_mul_i32 s10, s50, s1
	s_mul_hi_u32 s1, s48, s35
	s_mul_i32 s49, s49, s35
	s_mul_i32 s34, s44, s35
	s_mul_i32 s44, s48, s35
	s_add_i32 s35, s11, s45
	s_lshl_b64 s[6:7], s[6:7], 2
	s_add_u32 s11, s38, s6
	s_load_dwordx2 s[46:47], s[4:5], 0x20
	s_addc_u32 s36, s39, s7
	s_lshl_b64 s[6:7], s[34:35], 2
	s_add_u32 s61, s11, s6
	s_addc_u32 s62, s36, s7
	s_add_i32 s6, s54, s53
	s_add_i32 s11, s6, s51
	;; [unrolled: 1-line block ×4, first 2 shown]
	s_lshl_b64 s[6:7], s[10:11], 2
	s_load_dwordx4 s[36:39], s[4:5], 0x88
	s_waitcnt lgkmcnt(0)
	s_add_u32 s1, s46, s6
	s_addc_u32 s10, s47, s7
	s_lshl_b64 s[6:7], s[44:45], 2
	s_add_u32 s6, s1, s6
	s_addc_u32 s7, s10, s7
	s_cmp_lt_i32 s26, 1
	s_cselect_b64 s[10:11], -1, 0
	s_cmp_gt_i32 s29, 0
	s_cselect_b64 s[34:35], -1, 0
	s_cmp_gt_i32 s30, 0
	s_cselect_b64 s[44:45], -1, 0
	s_abs_i32 s63, s28
	v_cvt_f32_u32_e32 v1, s63
	s_abs_i32 s64, s2
	v_cvt_f32_u32_e32 v2, s64
	;; [unrolled: 2-line block ×3, first 2 shown]
	v_rcp_iflag_f32_e32 v1, v1
	v_rcp_iflag_f32_e32 v2, v2
	v_cmp_neq_f64_e64 s[46:47], s[40:41], 1.0
	v_rcp_iflag_f32_e32 v5, v5
	v_mul_f32_e32 v1, 0x4f7ffffe, v1
	v_cvt_u32_f32_e32 v1, v1
	v_mul_f32_e32 v2, 0x4f7ffffe, v2
	v_cmp_neq_f64_e64 s[48:49], s[42:43], 0
	v_cvt_u32_f32_e32 v2, v2
	v_mul_f32_e32 v5, 0x4f7ffffe, v5
	v_cvt_u32_f32_e32 v7, v5
	s_sub_i32 s1, 0, s63
	v_mul_lo_u32 v3, s1, v1
	s_sub_i32 s1, 0, s64
	v_mul_lo_u32 v4, s1, v2
	s_sub_i32 s1, 0, s65
	v_mul_lo_u32 v5, s1, v7
	s_or_b64 s[46:47], s[46:47], s[48:49]
	s_lshl_b64 s[48:49], s[38:39], 2
	s_lshl_b64 s[50:51], s[36:37], 2
	s_sub_i32 s66, 0, s0
	s_load_dword s2, s[4:5], 0xec
	s_load_dwordx4 s[36:39], s[4:5], 0xc0
	s_load_dwordx2 s[0:1], s[4:5], 0x98
	v_mul_hi_u32 v3, v1, v3
	v_mul_hi_u32 v4, v2, v4
	;; [unrolled: 1-line block ×3, first 2 shown]
	s_waitcnt lgkmcnt(0)
	s_and_b32 s67, s2, 0xffff
	v_add_u32_e32 v5, v1, v3
	v_add_u32_e32 v6, v2, v4
	s_ashr_i32 s68, s3, 31
	v_add_u32_e32 v7, v7, v8
	s_lshl_b64 s[52:53], s[0:1], 2
	s_ashr_i32 s69, s28, 31
	s_mov_b64 s[54:55], 0
	s_branch .LBB43_3
.LBB43_2:                               ;   in Loop: Header=BB43_3 Depth=1
	v_cvt_f32_f64_e32 v1, v[1:2]
	v_add_u32_e32 v0, s67, v0
	v_cmp_le_i32_e32 vcc, s33, v0
	s_or_b64 s[54:55], vcc, s[54:55]
	global_store_dword v[3:4], v1, off
	s_andn2_b64 exec, exec, s[54:55]
	s_cbranch_execz .LBB43_18
.LBB43_3:                               ; =>This Loop Header: Depth=1
                                        ;     Child Loop BB43_8 Depth 2
                                        ;       Child Loop BB43_11 Depth 3
                                        ;         Child Loop BB43_14 Depth 4
	v_sub_u32_e32 v1, 0, v0
	v_max_i32_e32 v4, v0, v1
	v_mul_hi_u32 v2, v4, v5
	v_ashrrev_i32_e32 v1, 31, v0
	v_xor_b32_e32 v8, s69, v1
	s_mov_b64 s[56:57], -1
	v_mul_lo_u32 v3, v2, s63
	v_add_u32_e32 v9, 1, v2
	v_sub_u32_e32 v3, v4, v3
	v_cmp_le_u32_e32 vcc, s63, v3
	v_cndmask_b32_e32 v2, v2, v9, vcc
	v_subrev_u32_e32 v9, s63, v3
	v_cndmask_b32_e32 v3, v3, v9, vcc
	v_add_u32_e32 v9, 1, v2
	v_cmp_le_u32_e32 vcc, s63, v3
	v_cndmask_b32_e32 v2, v2, v9, vcc
	v_xor_b32_e32 v2, v2, v8
	v_sub_u32_e32 v2, v2, v8
	v_sub_u32_e32 v3, 0, v2
	v_max_i32_e32 v8, v2, v3
	v_mul_hi_u32 v3, v8, v6
	v_mul_hi_u32 v9, v4, v7
	v_mul_lo_u32 v10, v2, s28
	v_mul_lo_u32 v11, v3, s64
	;; [unrolled: 1-line block ×3, first 2 shown]
	v_sub_u32_e32 v3, v0, v10
	v_sub_u32_e32 v8, v8, v11
	v_subrev_u32_e32 v10, s64, v8
	v_cmp_le_u32_e32 vcc, s64, v8
	v_sub_u32_e32 v4, v4, v12
	v_cndmask_b32_e32 v8, v8, v10, vcc
	v_subrev_u32_e32 v10, s65, v4
	v_cmp_le_u32_e64 s[0:1], s65, v4
	v_cndmask_b32_e64 v4, v4, v10, s[0:1]
	v_cmp_le_u32_e64 s[4:5], s64, v8
	v_cmp_le_u32_e64 s[2:3], s65, v4
	s_andn2_b64 vcc, exec, s[10:11]
	v_ashrrev_i32_e32 v4, 31, v3
	s_cbranch_vccnz .LBB43_5
; %bb.4:                                ;   in Loop: Header=BB43_3 Depth=1
	s_mov_b64 s[56:57], 0
.LBB43_5:                               ;   in Loop: Header=BB43_3 Depth=1
	v_subrev_u32_e32 v10, s64, v8
	v_ashrrev_i32_e32 v2, 31, v2
	v_cndmask_b32_e64 v8, v8, v10, s[4:5]
	v_xor_b32_e32 v10, s68, v1
	v_add_u32_e32 v1, 1, v9
	v_xor_b32_e32 v8, v8, v2
	v_cndmask_b32_e64 v1, v9, v1, s[0:1]
	v_sub_u32_e32 v8, v8, v2
	v_add_u32_e32 v2, 1, v1
	v_cndmask_b32_e64 v1, v1, v2, s[2:3]
	v_xor_b32_e32 v9, v1, v10
	v_mov_b32_e32 v1, 0
	v_mov_b32_e32 v2, 0
	s_andn2_b64 vcc, exec, s[56:57]
	v_sub_u32_e32 v9, v9, v10
	s_cbranch_vccnz .LBB43_16
; %bb.6:                                ;   in Loop: Header=BB43_3 Depth=1
	v_mul_lo_u32 v11, s9, v3
	v_mul_lo_u32 v12, s8, v4
	v_mad_u64_u32 v[1:2], s[0:1], s8, v3, 0
	v_mul_lo_u32 v13, v8, s38
	v_mul_lo_u32 v10, v9, s37
	v_add3_u32 v2, v2, v12, v11
	v_lshlrev_b64 v[1:2], 2, v[1:2]
	v_mov_b32_e32 v12, s60
	v_add_co_u32_e32 v11, vcc, s27, v1
	v_addc_co_u32_e32 v12, vcc, v12, v2, vcc
	v_mov_b32_e32 v1, 0
	v_add_u32_e32 v13, s66, v13
	v_mov_b32_e32 v2, 0
	s_mov_b32 s70, 0
	s_mov_b64 s[2:3], s[6:7]
	s_branch .LBB43_8
.LBB43_7:                               ;   in Loop: Header=BB43_8 Depth=2
	s_add_i32 s70, s70, 1
	s_add_u32 s2, s2, s52
	s_addc_u32 s3, s3, s53
	s_cmp_eq_u32 s70, s26
	s_cbranch_scc1 .LBB43_16
.LBB43_8:                               ;   Parent Loop BB43_3 Depth=1
                                        ; =>  This Loop Header: Depth=2
                                        ;       Child Loop BB43_11 Depth 3
                                        ;         Child Loop BB43_14 Depth 4
	s_andn2_b64 vcc, exec, s[34:35]
	s_cbranch_vccnz .LBB43_7
; %bb.9:                                ;   in Loop: Header=BB43_8 Depth=2
	s_mul_i32 s0, s17, s70
	s_mul_hi_u32 s1, s16, s70
	s_add_i32 s1, s1, s0
	s_mul_i32 s0, s16, s70
	s_lshl_b64 s[0:1], s[0:1], 2
	v_mov_b32_e32 v15, s1
	v_add_co_u32_e32 v14, vcc, s0, v11
	v_addc_co_u32_e32 v15, vcc, v12, v15, vcc
	s_mov_b32 s71, 0
	s_mov_b64 s[4:5], s[2:3]
	s_branch .LBB43_11
.LBB43_10:                              ;   in Loop: Header=BB43_11 Depth=3
	s_add_i32 s71, s71, 1
	s_add_u32 s4, s4, s48
	s_addc_u32 s5, s5, s49
	s_cmp_eq_u32 s71, s29
	s_cbranch_scc1 .LBB43_7
.LBB43_11:                              ;   Parent Loop BB43_3 Depth=1
                                        ;     Parent Loop BB43_8 Depth=2
                                        ; =>    This Loop Header: Depth=3
                                        ;         Child Loop BB43_14 Depth 4
	s_andn2_b64 vcc, exec, s[44:45]
	s_cbranch_vccnz .LBB43_10
; %bb.12:                               ;   in Loop: Header=BB43_11 Depth=3
	s_mul_i32 s0, s71, s31
	s_sub_i32 s0, s0, s39
	v_add_u32_e32 v19, s0, v10
	v_mad_u64_u32 v[16:17], s[0:1], s14, v19, 0
	v_cmp_gt_i32_e32 vcc, 0, v19
	s_mov_b64 s[58:59], s[4:5]
	v_mad_u64_u32 v[17:18], s[0:1], s15, v19, v[17:18]
	v_cmp_le_i32_e64 s[0:1], s24, v19
	s_or_b64 s[56:57], vcc, s[0:1]
	v_lshlrev_b64 v[16:17], 2, v[16:17]
	v_mov_b32_e32 v18, v13
	v_add_co_u32_e32 v16, vcc, v14, v16
	v_addc_co_u32_e32 v17, vcc, v15, v17, vcc
	s_mov_b32 s72, s30
	s_branch .LBB43_14
.LBB43_13:                              ;   in Loop: Header=BB43_14 Depth=4
	s_or_b64 exec, exec, s[0:1]
	s_add_i32 s72, s72, -1
	s_add_u32 s58, s58, s50
	s_addc_u32 s59, s59, s51
	s_cmp_eq_u32 s72, 0
	v_add_u32_e32 v18, s36, v18
	s_cbranch_scc1 .LBB43_10
.LBB43_14:                              ;   Parent Loop BB43_3 Depth=1
                                        ;     Parent Loop BB43_8 Depth=2
                                        ;       Parent Loop BB43_11 Depth=3
                                        ; =>      This Inner Loop Header: Depth=4
	v_cmp_gt_i32_e32 vcc, 0, v18
	v_cmp_le_i32_e64 s[0:1], s25, v18
	s_or_b64 s[0:1], vcc, s[0:1]
	s_nor_b64 s[74:75], s[56:57], s[0:1]
	s_and_saveexec_b64 s[0:1], s[74:75]
	s_cbranch_execz .LBB43_13
; %bb.15:                               ;   in Loop: Header=BB43_14 Depth=4
	v_mad_u64_u32 v[19:20], s[74:75], s12, v18, 0
	s_load_dword s73, s[58:59], 0x0
	v_mad_u64_u32 v[20:21], s[74:75], s13, v18, v[20:21]
	s_waitcnt lgkmcnt(0)
	v_cvt_f64_f32_e32 v[21:22], s73
	v_lshlrev_b64 v[19:20], 2, v[19:20]
	v_add_co_u32_e32 v19, vcc, v16, v19
	v_addc_co_u32_e32 v20, vcc, v17, v20, vcc
	global_load_dword v19, v[19:20], off
	s_waitcnt vmcnt(0)
	v_cvt_f64_f32_e32 v[19:20], v19
	v_fma_f64 v[1:2], v[19:20], v[21:22], v[1:2]
	s_branch .LBB43_13
.LBB43_16:                              ;   in Loop: Header=BB43_3 Depth=1
	v_ashrrev_i32_e32 v10, 31, v9
	v_mul_lo_u32 v13, s23, v9
	v_mul_lo_u32 v14, s22, v10
	v_mad_u64_u32 v[9:10], s[0:1], s22, v9, 0
	v_ashrrev_i32_e32 v11, 31, v8
	v_mul_lo_u32 v15, s21, v8
	v_mul_lo_u32 v16, s20, v11
	v_mad_u64_u32 v[11:12], s[0:1], s20, v8, 0
	v_mul_lo_u32 v8, v4, s18
	v_mul_lo_u32 v17, v3, s19
	v_mad_u64_u32 v[3:4], s[0:1], v3, s18, 0
	v_add3_u32 v10, v10, v14, v13
	v_add3_u32 v12, v12, v16, v15
	;; [unrolled: 1-line block ×3, first 2 shown]
	v_lshlrev_b64 v[8:9], 2, v[9:10]
	v_mov_b32_e32 v10, s62
	v_add_co_u32_e32 v13, vcc, s61, v8
	v_addc_co_u32_e32 v10, vcc, v10, v9, vcc
	v_lshlrev_b64 v[8:9], 2, v[11:12]
	v_lshlrev_b64 v[3:4], 2, v[3:4]
	v_add_co_u32_e32 v8, vcc, v13, v8
	v_addc_co_u32_e32 v9, vcc, v10, v9, vcc
	v_add_co_u32_e64 v3, s[0:1], v8, v3
	s_andn2_b64 vcc, exec, s[46:47]
	v_addc_co_u32_e64 v4, s[0:1], v9, v4, s[0:1]
	s_cbranch_vccnz .LBB43_2
; %bb.17:                               ;   in Loop: Header=BB43_3 Depth=1
	global_load_dword v8, v[3:4], off
	s_waitcnt vmcnt(0)
	v_cvt_f64_f32_e32 v[8:9], v8
	v_mul_f64 v[8:9], s[42:43], v[8:9]
	v_fma_f64 v[1:2], s[40:41], v[1:2], v[8:9]
	s_branch .LBB43_2
.LBB43_18:
	s_endpgm
	.section	.rodata,"a",@progbits
	.p2align	6, 0x0
	.amdhsa_kernel naive_conv_ab_nonpacked_wrw_nhwc_float_double_float
		.amdhsa_group_segment_fixed_size 0
		.amdhsa_private_segment_fixed_size 0
		.amdhsa_kernarg_size 480
		.amdhsa_user_sgpr_count 6
		.amdhsa_user_sgpr_private_segment_buffer 1
		.amdhsa_user_sgpr_dispatch_ptr 0
		.amdhsa_user_sgpr_queue_ptr 0
		.amdhsa_user_sgpr_kernarg_segment_ptr 1
		.amdhsa_user_sgpr_dispatch_id 0
		.amdhsa_user_sgpr_flat_scratch_init 0
		.amdhsa_user_sgpr_private_segment_size 0
		.amdhsa_uses_dynamic_stack 0
		.amdhsa_system_sgpr_private_segment_wavefront_offset 0
		.amdhsa_system_sgpr_workgroup_id_x 1
		.amdhsa_system_sgpr_workgroup_id_y 0
		.amdhsa_system_sgpr_workgroup_id_z 0
		.amdhsa_system_sgpr_workgroup_info 0
		.amdhsa_system_vgpr_workitem_id 0
		.amdhsa_next_free_vgpr 23
		.amdhsa_next_free_sgpr 76
		.amdhsa_reserve_vcc 1
		.amdhsa_reserve_flat_scratch 0
		.amdhsa_float_round_mode_32 0
		.amdhsa_float_round_mode_16_64 0
		.amdhsa_float_denorm_mode_32 3
		.amdhsa_float_denorm_mode_16_64 3
		.amdhsa_dx10_clamp 1
		.amdhsa_ieee_mode 1
		.amdhsa_fp16_overflow 0
		.amdhsa_exception_fp_ieee_invalid_op 0
		.amdhsa_exception_fp_denorm_src 0
		.amdhsa_exception_fp_ieee_div_zero 0
		.amdhsa_exception_fp_ieee_overflow 0
		.amdhsa_exception_fp_ieee_underflow 0
		.amdhsa_exception_fp_ieee_inexact 0
		.amdhsa_exception_int_div_zero 0
	.end_amdhsa_kernel
	.text
.Lfunc_end43:
	.size	naive_conv_ab_nonpacked_wrw_nhwc_float_double_float, .Lfunc_end43-naive_conv_ab_nonpacked_wrw_nhwc_float_double_float
                                        ; -- End function
	.set naive_conv_ab_nonpacked_wrw_nhwc_float_double_float.num_vgpr, 23
	.set naive_conv_ab_nonpacked_wrw_nhwc_float_double_float.num_agpr, 0
	.set naive_conv_ab_nonpacked_wrw_nhwc_float_double_float.numbered_sgpr, 76
	.set naive_conv_ab_nonpacked_wrw_nhwc_float_double_float.num_named_barrier, 0
	.set naive_conv_ab_nonpacked_wrw_nhwc_float_double_float.private_seg_size, 0
	.set naive_conv_ab_nonpacked_wrw_nhwc_float_double_float.uses_vcc, 1
	.set naive_conv_ab_nonpacked_wrw_nhwc_float_double_float.uses_flat_scratch, 0
	.set naive_conv_ab_nonpacked_wrw_nhwc_float_double_float.has_dyn_sized_stack, 0
	.set naive_conv_ab_nonpacked_wrw_nhwc_float_double_float.has_recursion, 0
	.set naive_conv_ab_nonpacked_wrw_nhwc_float_double_float.has_indirect_call, 0
	.section	.AMDGPU.csdata,"",@progbits
; Kernel info:
; codeLenInByte = 1576
; TotalNumSgprs: 80
; NumVgprs: 23
; ScratchSize: 0
; MemoryBound: 0
; FloatMode: 240
; IeeeMode: 1
; LDSByteSize: 0 bytes/workgroup (compile time only)
; SGPRBlocks: 9
; VGPRBlocks: 5
; NumSGPRsForWavesPerEU: 80
; NumVGPRsForWavesPerEU: 23
; Occupancy: 10
; WaveLimiterHint : 0
; COMPUTE_PGM_RSRC2:SCRATCH_EN: 0
; COMPUTE_PGM_RSRC2:USER_SGPR: 6
; COMPUTE_PGM_RSRC2:TRAP_HANDLER: 0
; COMPUTE_PGM_RSRC2:TGID_X_EN: 1
; COMPUTE_PGM_RSRC2:TGID_Y_EN: 0
; COMPUTE_PGM_RSRC2:TGID_Z_EN: 0
; COMPUTE_PGM_RSRC2:TIDIG_COMP_CNT: 0
	.text
	.protected	naive_conv_ab_packed_wrw_nhwc_half_double_half ; -- Begin function naive_conv_ab_packed_wrw_nhwc_half_double_half
	.globl	naive_conv_ab_packed_wrw_nhwc_half_double_half
	.p2align	8
	.type	naive_conv_ab_packed_wrw_nhwc_half_double_half,@function
naive_conv_ab_packed_wrw_nhwc_half_double_half: ; @naive_conv_ab_packed_wrw_nhwc_half_double_half
; %bb.0:
	s_load_dwordx16 s[8:23], s[4:5], 0xa0
	s_waitcnt lgkmcnt(0)
	s_abs_i32 s3, s11
	v_cvt_f32_u32_e32 v1, s3
	s_mul_i32 s2, s22, s12
	s_mul_i32 s33, s2, s21
	v_cmp_gt_i32_e32 vcc, s33, v0
	v_rcp_iflag_f32_e32 v1, v1
	v_mul_f32_e32 v1, 0x4f7ffffe, v1
	v_cvt_u32_f32_e32 v1, v1
	v_readfirstlane_b32 s7, v1
	s_and_saveexec_b64 s[0:1], vcc
	s_cbranch_execz .LBB44_20
; %bb.1:
	s_sub_i32 s37, 0, s3
	s_mul_i32 s37, s37, s7
	s_mul_hi_u32 s37, s7, s37
	s_abs_i32 s36, s6
	s_add_i32 s7, s7, s37
	s_ashr_i32 s34, s6, 31
	s_ashr_i32 s35, s11, 31
	s_mul_hi_u32 s7, s36, s7
	s_xor_b32 s34, s34, s35
	s_mul_i32 s35, s7, s3
	s_sub_i32 s35, s36, s35
	s_add_i32 s36, s7, 1
	s_sub_i32 s37, s35, s3
	s_cmp_ge_u32 s35, s3
	s_cselect_b32 s7, s36, s7
	s_cselect_b32 s35, s37, s35
	s_add_i32 s36, s7, 1
	s_cmp_ge_u32 s35, s3
	s_cselect_b32 s3, s36, s7
	s_load_dwordx8 s[24:31], s[4:5], 0x0
	s_load_dwordx2 s[0:1], s[4:5], 0x20
	s_xor_b32 s3, s3, s34
	s_sub_i32 s3, s3, s34
	s_mul_i32 s34, s3, s11
	s_mul_hi_i32 s37, s3, s12
	s_mul_i32 s36, s3, s12
	s_sub_i32 s6, s6, s34
	s_ashr_i32 s48, s12, 31
	s_lshl_b64 s[36:37], s[36:37], 1
	s_waitcnt lgkmcnt(0)
	s_add_u32 s50, s24, s36
	s_addc_u32 s51, s25, s37
	s_mul_hi_i32 s35, s3, s11
	s_ashr_i32 s3, s22, 31
	s_ashr_i32 s7, s6, 31
	s_mul_hi_i32 s36, s21, s12
	s_mul_i32 s21, s21, s12
	s_add_u32 s24, s34, s6
	s_mul_i32 s3, s21, s3
	s_mul_hi_u32 s37, s21, s22
	s_addc_u32 s25, s35, s7
	s_add_i32 s3, s37, s3
	s_mul_i32 s36, s36, s22
	s_mul_i32 s21, s21, s22
	s_add_i32 s3, s3, s36
	s_mul_i32 s25, s21, s25
	s_mul_hi_u32 s36, s21, s24
	s_add_i32 s25, s36, s25
	s_mul_i32 s3, s3, s24
	s_add_i32 s25, s25, s3
	s_mul_i32 s24, s21, s24
	s_lshl_b64 s[24:25], s[24:25], 1
	s_add_u32 s52, s26, s24
	s_addc_u32 s53, s27, s25
	s_lshl_b64 s[24:25], s[34:35], 1
	s_load_dword s3, s[4:5], 0xec
	s_add_u32 s4, s0, s24
	s_addc_u32 s5, s1, s25
	s_lshl_b64 s[0:1], s[6:7], 1
	s_add_u32 s6, s4, s0
	s_addc_u32 s7, s5, s1
	s_cmp_lt_i32 s10, 1
	s_cselect_b64 s[24:25], -1, 0
	s_cmp_gt_i32 s13, 0
	s_cselect_b64 s[26:27], -1, 0
	s_cmp_gt_i32 s14, 0
	s_mov_b32 s49, s12
	s_mul_i32 s54, s23, s12
	s_cselect_b64 s[34:35], -1, 0
	s_abs_i32 s12, s12
	v_cvt_f32_u32_e32 v1, s12
	s_abs_i32 s58, s22
	v_cvt_f32_u32_e32 v2, s58
	s_abs_i32 s59, s2
	v_rcp_iflag_f32_e32 v1, v1
	v_cvt_f32_u32_e32 v3, s59
	v_cmp_neq_f64_e64 s[4:5], s[28:29], 1.0
	v_cmp_neq_f64_e64 s[36:37], s[30:31], 0
	v_rcp_iflag_f32_e32 v2, v2
	v_mul_f32_e32 v1, 0x4f7ffffe, v1
	v_rcp_iflag_f32_e32 v3, v3
	v_cvt_u32_f32_e32 v1, v1
	v_mul_f32_e32 v2, 0x4f7ffffe, v2
	s_sub_i32 s38, 0, s12
	v_cvt_u32_f32_e32 v2, v2
	v_mul_f32_e32 v3, 0x4f7ffffe, v3
	v_mul_lo_u32 v4, s38, v1
	v_cvt_u32_f32_e32 v3, v3
	s_or_b64 s[36:37], s[4:5], s[36:37]
	s_sub_i32 s4, 0, s58
	v_mul_lo_u32 v5, s4, v2
	s_sub_i32 s4, 0, s59
	v_mul_hi_u32 v4, v1, v4
	v_mul_lo_u32 v6, s4, v3
	s_mul_i32 s0, s23, s11
	s_ashr_i32 s21, s13, 31
	s_ashr_i32 s61, s2, 31
	s_mul_i32 s2, s14, s0
	s_waitcnt lgkmcnt(0)
	s_and_b32 s60, s3, 0xffff
	v_mul_hi_u32 v5, v2, v5
	v_add_u32_e32 v8, v1, v4
	v_mul_hi_u32 v1, v3, v6
	s_mul_i32 s3, s2, s21
	s_mul_hi_u32 s4, s2, s13
	s_add_i32 s4, s4, s3
	s_mul_hi_i32 s3, s14, s0
	s_mul_i32 s5, s3, s13
	s_ashr_i32 s1, s0, 31
	s_add_i32 s5, s4, s5
	s_mul_i32 s4, s2, s13
	s_ashr_i32 s11, s8, 31
	s_mov_b32 s23, s8
	s_ashr_i32 s55, s9, 31
	s_mov_b32 s56, s9
	s_ashr_i32 s57, s54, 31
	v_mov_b32_e32 v9, 0
	v_add_u32_e32 v10, v2, v5
	v_add_u32_e32 v11, v3, v1
	s_lshl_b64 s[38:39], s[4:5], 1
	s_lshl_b64 s[40:41], s[2:3], 1
	;; [unrolled: 1-line block ×3, first 2 shown]
	s_sub_i32 s62, 0, s20
	s_movk_i32 s63, 0x1ff
	s_movk_i32 s64, 0xffe
	;; [unrolled: 1-line block ×3, first 2 shown]
	s_mov_b32 s66, 0x8000
	v_mov_b32_e32 v12, 0x7c00
	v_mov_b32_e32 v13, 0x7e00
	s_mov_b64 s[20:21], 0
	s_branch .LBB44_3
.LBB44_2:                               ;   in Loop: Header=BB44_3 Depth=1
	v_add_u32_e32 v0, s60, v0
	v_cmp_le_i32_e32 vcc, s33, v0
	s_or_b64 s[20:21], vcc, s[20:21]
	s_andn2_b64 exec, exec, s[20:21]
	s_cbranch_execz .LBB44_20
.LBB44_3:                               ; =>This Loop Header: Depth=1
                                        ;     Child Loop BB44_8 Depth 2
                                        ;       Child Loop BB44_11 Depth 3
                                        ;         Child Loop BB44_14 Depth 4
	v_sub_u32_e32 v1, 0, v0
	v_max_i32_e32 v4, v0, v1
	v_mul_hi_u32 v2, v4, v8
	v_ashrrev_i32_e32 v1, 31, v0
	v_xor_b32_e32 v5, s48, v1
	s_mov_b64 s[44:45], -1
	v_mul_lo_u32 v3, v2, s12
	v_add_u32_e32 v6, 1, v2
	v_sub_u32_e32 v3, v4, v3
	v_cmp_le_u32_e32 vcc, s12, v3
	v_cndmask_b32_e32 v2, v2, v6, vcc
	v_subrev_u32_e32 v6, s12, v3
	v_cndmask_b32_e32 v3, v3, v6, vcc
	v_add_u32_e32 v6, 1, v2
	v_cmp_le_u32_e32 vcc, s12, v3
	v_cndmask_b32_e32 v2, v2, v6, vcc
	v_xor_b32_e32 v2, v2, v5
	v_sub_u32_e32 v2, v2, v5
	v_sub_u32_e32 v3, 0, v2
	v_max_i32_e32 v5, v2, v3
	v_mul_hi_u32 v3, v5, v10
	v_mul_hi_u32 v6, v4, v11
	v_mul_lo_u32 v7, v2, s49
	v_mul_lo_u32 v14, v3, s58
	;; [unrolled: 1-line block ×3, first 2 shown]
	v_sub_u32_e32 v3, v0, v7
	v_sub_u32_e32 v5, v5, v14
	v_subrev_u32_e32 v7, s58, v5
	v_cmp_le_u32_e32 vcc, s58, v5
	v_sub_u32_e32 v4, v4, v15
	v_cndmask_b32_e32 v5, v5, v7, vcc
	v_subrev_u32_e32 v7, s59, v4
	v_cmp_le_u32_e64 s[0:1], s59, v4
	v_cndmask_b32_e64 v4, v4, v7, s[0:1]
	v_cmp_le_u32_e64 s[4:5], s58, v5
	v_cmp_le_u32_e64 s[2:3], s59, v4
	s_andn2_b64 vcc, exec, s[24:25]
	v_ashrrev_i32_e32 v4, 31, v3
	s_cbranch_vccnz .LBB44_5
; %bb.4:                                ;   in Loop: Header=BB44_3 Depth=1
	s_mov_b64 s[44:45], 0
.LBB44_5:                               ;   in Loop: Header=BB44_3 Depth=1
	v_subrev_u32_e32 v7, s58, v5
	v_ashrrev_i32_e32 v2, 31, v2
	v_cndmask_b32_e64 v5, v5, v7, s[4:5]
	v_xor_b32_e32 v7, s61, v1
	v_add_u32_e32 v1, 1, v6
	v_xor_b32_e32 v5, v5, v2
	v_cndmask_b32_e64 v1, v6, v1, s[0:1]
	v_sub_u32_e32 v5, v5, v2
	v_add_u32_e32 v2, 1, v1
	v_cndmask_b32_e64 v1, v1, v2, s[2:3]
	v_xor_b32_e32 v6, v1, v7
	v_mov_b32_e32 v1, 0
	v_mov_b32_e32 v2, 0
	s_andn2_b64 vcc, exec, s[44:45]
	v_sub_u32_e32 v14, v6, v7
	s_cbranch_vccnz .LBB44_16
; %bb.6:                                ;   in Loop: Header=BB44_3 Depth=1
	v_mul_lo_u32 v6, v5, s18
	v_lshlrev_b64 v[1:2], 1, v[3:4]
	v_mul_lo_u32 v15, v14, s17
	v_mov_b32_e32 v7, s51
	v_add_co_u32_e32 v16, vcc, s50, v1
	v_addc_co_u32_e32 v17, vcc, v7, v2, vcc
	v_mov_b32_e32 v1, 0
	v_add_u32_e32 v18, s62, v6
	v_mov_b32_e32 v2, 0
	s_mov_b32 s67, 0
	s_mov_b64 s[2:3], s[6:7]
	s_branch .LBB44_8
.LBB44_7:                               ;   in Loop: Header=BB44_8 Depth=2
	s_add_i32 s67, s67, 1
	s_add_u32 s2, s2, s38
	s_addc_u32 s3, s3, s39
	s_cmp_eq_u32 s67, s10
	s_cbranch_scc1 .LBB44_16
.LBB44_8:                               ;   Parent Loop BB44_3 Depth=1
                                        ; =>  This Loop Header: Depth=2
                                        ;       Child Loop BB44_11 Depth 3
                                        ;         Child Loop BB44_14 Depth 4
	s_andn2_b64 vcc, exec, s[26:27]
	s_cbranch_vccnz .LBB44_7
; %bb.9:                                ;   in Loop: Header=BB44_8 Depth=2
	s_mul_i32 s0, s67, s11
	s_mul_hi_u32 s1, s67, s23
	s_add_i32 s68, s1, s0
	s_mul_i32 s69, s67, s23
	s_mov_b32 s70, 0
	s_mov_b64 s[4:5], s[2:3]
	s_branch .LBB44_11
.LBB44_10:                              ;   in Loop: Header=BB44_11 Depth=3
	s_add_i32 s70, s70, 1
	s_add_u32 s4, s4, s40
	s_addc_u32 s5, s5, s41
	s_cmp_eq_u32 s70, s13
	s_cbranch_scc1 .LBB44_7
.LBB44_11:                              ;   Parent Loop BB44_3 Depth=1
                                        ;     Parent Loop BB44_8 Depth=2
                                        ; =>    This Loop Header: Depth=3
                                        ;         Child Loop BB44_14 Depth 4
	s_andn2_b64 vcc, exec, s[34:35]
	s_cbranch_vccnz .LBB44_10
; %bb.12:                               ;   in Loop: Header=BB44_11 Depth=3
	s_mul_i32 s0, s70, s15
	s_sub_i32 s0, s0, s19
	v_add_u32_e32 v19, s0, v15
	v_mov_b32_e32 v6, s68
	v_add_co_u32_e32 v7, vcc, s69, v19
	v_addc_co_u32_e32 v6, vcc, 0, v6, vcc
	v_mul_lo_u32 v20, v6, s56
	v_mul_lo_u32 v21, v7, s55
	v_mad_u64_u32 v[6:7], s[0:1], v7, s56, 0
	v_cmp_gt_i32_e32 vcc, 0, v19
	v_cmp_le_i32_e64 s[0:1], s8, v19
	s_or_b64 s[44:45], vcc, s[0:1]
	v_add3_u32 v7, v7, v21, v20
	v_mov_b32_e32 v19, v18
	s_mov_b64 s[46:47], s[4:5]
	s_mov_b32 s71, s14
	s_branch .LBB44_14
.LBB44_13:                              ;   in Loop: Header=BB44_14 Depth=4
	s_or_b64 exec, exec, s[0:1]
	s_add_i32 s71, s71, -1
	s_add_u32 s46, s46, s42
	s_addc_u32 s47, s47, s43
	s_cmp_eq_u32 s71, 0
	v_add_u32_e32 v19, s16, v19
	s_cbranch_scc1 .LBB44_10
.LBB44_14:                              ;   Parent Loop BB44_3 Depth=1
                                        ;     Parent Loop BB44_8 Depth=2
                                        ;       Parent Loop BB44_11 Depth=3
                                        ; =>      This Inner Loop Header: Depth=4
	v_cmp_gt_i32_e32 vcc, 0, v19
	v_cmp_le_i32_e64 s[0:1], s9, v19
	s_or_b64 s[0:1], vcc, s[0:1]
	s_nor_b64 s[72:73], s[44:45], s[0:1]
	s_and_saveexec_b64 s[0:1], s[72:73]
	s_cbranch_execz .LBB44_13
; %bb.15:                               ;   in Loop: Header=BB44_14 Depth=4
	v_add_co_u32_e32 v20, vcc, v6, v19
	v_addc_co_u32_e32 v21, vcc, 0, v7, vcc
	v_mul_lo_u32 v22, v21, s54
	v_mul_lo_u32 v23, v20, s57
	v_mad_u64_u32 v[20:21], s[72:73], v20, s54, 0
	v_add3_u32 v21, v21, v23, v22
	v_lshlrev_b64 v[20:21], 1, v[20:21]
	v_add_co_u32_e32 v20, vcc, v16, v20
	v_addc_co_u32_e32 v21, vcc, v17, v21, vcc
	global_load_ushort v20, v[20:21], off
	s_nop 0
	global_load_ushort v21, v9, s[46:47]
	s_waitcnt vmcnt(1)
	v_cvt_f32_f16_e32 v20, v20
	s_waitcnt vmcnt(0)
	v_cvt_f32_f16_e32 v22, v21
	v_cvt_f64_f32_e32 v[20:21], v20
	v_cvt_f64_f32_e32 v[22:23], v22
	v_fma_f64 v[1:2], v[20:21], v[22:23], v[1:2]
	s_branch .LBB44_13
.LBB44_16:                              ;   in Loop: Header=BB44_3 Depth=1
	v_ashrrev_i32_e32 v6, 31, v5
	v_mad_i64_i32 v[5:6], s[0:1], v14, s22, v[5:6]
	s_and_b64 vcc, exec, s[36:37]
	v_mul_lo_u32 v7, v5, s48
	v_mul_lo_u32 v6, v6, s49
	v_mad_u64_u32 v[3:4], s[0:1], v5, s49, v[3:4]
	s_mov_b64 s[0:1], -1
	v_add3_u32 v4, v6, v4, v7
	v_lshlrev_b64 v[3:4], 1, v[3:4]
	s_cbranch_vccz .LBB44_18
; %bb.17:                               ;   in Loop: Header=BB44_3 Depth=1
	v_mov_b32_e32 v6, s53
	v_add_co_u32_e32 v5, vcc, s52, v3
	v_addc_co_u32_e32 v6, vcc, v6, v4, vcc
	global_load_ushort v7, v[5:6], off
	s_mov_b64 s[0:1], 0
	s_waitcnt vmcnt(0)
	v_cvt_f32_f16_e32 v7, v7
	v_cvt_f64_f32_e32 v[14:15], v7
	v_mul_f64 v[14:15], s[30:31], v[14:15]
	v_fma_f64 v[14:15], s[28:29], v[1:2], v[14:15]
	v_and_or_b32 v7, v15, s63, v14
	v_cmp_ne_u32_e32 vcc, 0, v7
	v_lshrrev_b32_e32 v14, 8, v15
	v_bfe_u32 v16, v15, 20, 11
	v_cndmask_b32_e64 v7, 0, 1, vcc
	v_sub_u32_e32 v17, 0x3f1, v16
	v_and_or_b32 v7, v14, s64, v7
	v_med3_i32 v14, v17, 0, 13
	v_or_b32_e32 v17, 0x1000, v7
	v_lshrrev_b32_e32 v19, v14, v17
	v_add_u32_e32 v16, 0xfffffc10, v16
	v_cmp_ne_u32_e32 vcc, 0, v7
	v_lshlrev_b32_e32 v14, v14, v19
	v_lshl_or_b32 v18, v16, 12, v7
	v_cndmask_b32_e32 v7, v12, v13, vcc
	v_cmp_ne_u32_e32 vcc, v14, v17
	v_cndmask_b32_e64 v14, 0, 1, vcc
	v_or_b32_e32 v14, v19, v14
	v_cmp_gt_i32_e32 vcc, 1, v16
	v_cndmask_b32_e32 v14, v18, v14, vcc
	v_and_b32_e32 v17, 7, v14
	v_cmp_lt_i32_e32 vcc, 5, v17
	v_cndmask_b32_e64 v18, 0, 1, vcc
	v_cmp_eq_u32_e32 vcc, 3, v17
	v_cndmask_b32_e64 v17, 0, 1, vcc
	v_lshrrev_b32_e32 v14, 2, v14
	v_or_b32_e32 v17, v17, v18
	v_add_u32_e32 v14, v14, v17
	v_cmp_gt_i32_e32 vcc, 31, v16
	v_cndmask_b32_e32 v14, v12, v14, vcc
	v_cmp_eq_u32_e32 vcc, s65, v16
	v_lshrrev_b32_e32 v15, 16, v15
	v_cndmask_b32_e32 v7, v14, v7, vcc
	v_and_or_b32 v7, v15, s66, v7
	global_store_short v[5:6], v7, off
.LBB44_18:                              ;   in Loop: Header=BB44_3 Depth=1
	s_andn2_b64 vcc, exec, s[0:1]
	s_cbranch_vccnz .LBB44_2
; %bb.19:                               ;   in Loop: Header=BB44_3 Depth=1
	v_and_or_b32 v1, v2, s63, v1
	v_cmp_ne_u32_e32 vcc, 0, v1
	v_cndmask_b32_e64 v1, 0, 1, vcc
	v_lshrrev_b32_e32 v5, 8, v2
	v_bfe_u32 v6, v2, 20, 11
	v_and_or_b32 v1, v5, s64, v1
	v_sub_u32_e32 v7, 0x3f1, v6
	v_or_b32_e32 v5, 0x1000, v1
	v_med3_i32 v7, v7, 0, 13
	v_lshrrev_b32_e32 v14, v7, v5
	v_lshlrev_b32_e32 v7, v7, v14
	v_cmp_ne_u32_e32 vcc, v7, v5
	v_cndmask_b32_e64 v5, 0, 1, vcc
	v_add_u32_e32 v6, 0xfffffc10, v6
	v_or_b32_e32 v5, v14, v5
	v_lshl_or_b32 v7, v6, 12, v1
	v_cmp_gt_i32_e32 vcc, 1, v6
	v_cndmask_b32_e32 v5, v7, v5, vcc
	v_and_b32_e32 v7, 7, v5
	v_cmp_lt_i32_e32 vcc, 5, v7
	v_cndmask_b32_e64 v14, 0, 1, vcc
	v_cmp_eq_u32_e32 vcc, 3, v7
	v_cndmask_b32_e64 v7, 0, 1, vcc
	v_or_b32_e32 v7, v7, v14
	v_lshrrev_b32_e32 v5, 2, v5
	v_add_u32_e32 v5, v5, v7
	v_cmp_gt_i32_e32 vcc, 31, v6
	v_cndmask_b32_e32 v5, v12, v5, vcc
	v_cmp_ne_u32_e32 vcc, 0, v1
	v_cndmask_b32_e32 v1, v12, v13, vcc
	v_cmp_eq_u32_e32 vcc, s65, v6
	v_cndmask_b32_e32 v1, v5, v1, vcc
	v_lshrrev_b32_e32 v2, 16, v2
	v_and_or_b32 v5, v2, s66, v1
	v_mov_b32_e32 v2, s53
	v_add_co_u32_e32 v1, vcc, s52, v3
	v_addc_co_u32_e32 v2, vcc, v2, v4, vcc
	global_store_short v[1:2], v5, off
	s_branch .LBB44_2
.LBB44_20:
	s_endpgm
	.section	.rodata,"a",@progbits
	.p2align	6, 0x0
	.amdhsa_kernel naive_conv_ab_packed_wrw_nhwc_half_double_half
		.amdhsa_group_segment_fixed_size 0
		.amdhsa_private_segment_fixed_size 0
		.amdhsa_kernarg_size 480
		.amdhsa_user_sgpr_count 6
		.amdhsa_user_sgpr_private_segment_buffer 1
		.amdhsa_user_sgpr_dispatch_ptr 0
		.amdhsa_user_sgpr_queue_ptr 0
		.amdhsa_user_sgpr_kernarg_segment_ptr 1
		.amdhsa_user_sgpr_dispatch_id 0
		.amdhsa_user_sgpr_flat_scratch_init 0
		.amdhsa_user_sgpr_private_segment_size 0
		.amdhsa_uses_dynamic_stack 0
		.amdhsa_system_sgpr_private_segment_wavefront_offset 0
		.amdhsa_system_sgpr_workgroup_id_x 1
		.amdhsa_system_sgpr_workgroup_id_y 0
		.amdhsa_system_sgpr_workgroup_id_z 0
		.amdhsa_system_sgpr_workgroup_info 0
		.amdhsa_system_vgpr_workitem_id 0
		.amdhsa_next_free_vgpr 24
		.amdhsa_next_free_sgpr 74
		.amdhsa_reserve_vcc 1
		.amdhsa_reserve_flat_scratch 0
		.amdhsa_float_round_mode_32 0
		.amdhsa_float_round_mode_16_64 0
		.amdhsa_float_denorm_mode_32 3
		.amdhsa_float_denorm_mode_16_64 3
		.amdhsa_dx10_clamp 1
		.amdhsa_ieee_mode 1
		.amdhsa_fp16_overflow 0
		.amdhsa_exception_fp_ieee_invalid_op 0
		.amdhsa_exception_fp_denorm_src 0
		.amdhsa_exception_fp_ieee_div_zero 0
		.amdhsa_exception_fp_ieee_overflow 0
		.amdhsa_exception_fp_ieee_underflow 0
		.amdhsa_exception_fp_ieee_inexact 0
		.amdhsa_exception_int_div_zero 0
	.end_amdhsa_kernel
	.text
.Lfunc_end44:
	.size	naive_conv_ab_packed_wrw_nhwc_half_double_half, .Lfunc_end44-naive_conv_ab_packed_wrw_nhwc_half_double_half
                                        ; -- End function
	.set naive_conv_ab_packed_wrw_nhwc_half_double_half.num_vgpr, 24
	.set naive_conv_ab_packed_wrw_nhwc_half_double_half.num_agpr, 0
	.set naive_conv_ab_packed_wrw_nhwc_half_double_half.numbered_sgpr, 74
	.set naive_conv_ab_packed_wrw_nhwc_half_double_half.num_named_barrier, 0
	.set naive_conv_ab_packed_wrw_nhwc_half_double_half.private_seg_size, 0
	.set naive_conv_ab_packed_wrw_nhwc_half_double_half.uses_vcc, 1
	.set naive_conv_ab_packed_wrw_nhwc_half_double_half.uses_flat_scratch, 0
	.set naive_conv_ab_packed_wrw_nhwc_half_double_half.has_dyn_sized_stack, 0
	.set naive_conv_ab_packed_wrw_nhwc_half_double_half.has_recursion, 0
	.set naive_conv_ab_packed_wrw_nhwc_half_double_half.has_indirect_call, 0
	.section	.AMDGPU.csdata,"",@progbits
; Kernel info:
; codeLenInByte = 1892
; TotalNumSgprs: 78
; NumVgprs: 24
; ScratchSize: 0
; MemoryBound: 0
; FloatMode: 240
; IeeeMode: 1
; LDSByteSize: 0 bytes/workgroup (compile time only)
; SGPRBlocks: 9
; VGPRBlocks: 5
; NumSGPRsForWavesPerEU: 78
; NumVGPRsForWavesPerEU: 24
; Occupancy: 10
; WaveLimiterHint : 0
; COMPUTE_PGM_RSRC2:SCRATCH_EN: 0
; COMPUTE_PGM_RSRC2:USER_SGPR: 6
; COMPUTE_PGM_RSRC2:TRAP_HANDLER: 0
; COMPUTE_PGM_RSRC2:TGID_X_EN: 1
; COMPUTE_PGM_RSRC2:TGID_Y_EN: 0
; COMPUTE_PGM_RSRC2:TGID_Z_EN: 0
; COMPUTE_PGM_RSRC2:TIDIG_COMP_CNT: 0
	.text
	.protected	naive_conv_ab_nonpacked_wrw_nhwc_half_double_half ; -- Begin function naive_conv_ab_nonpacked_wrw_nhwc_half_double_half
	.globl	naive_conv_ab_nonpacked_wrw_nhwc_half_double_half
	.p2align	8
	.type	naive_conv_ab_nonpacked_wrw_nhwc_half_double_half,@function
naive_conv_ab_nonpacked_wrw_nhwc_half_double_half: ; @naive_conv_ab_nonpacked_wrw_nhwc_half_double_half
; %bb.0:
	s_load_dwordx8 s[24:31], s[4:5], 0xa0
	s_load_dwordx4 s[0:3], s[4:5], 0xd0
	s_waitcnt lgkmcnt(0)
	s_abs_i32 s7, s27
	v_cvt_f32_u32_e32 v1, s7
	s_mul_i32 s3, s2, s28
	s_mul_i32 s33, s3, s1
	v_cmp_gt_i32_e32 vcc, s33, v0
	v_rcp_iflag_f32_e32 v1, v1
	v_mul_f32_e32 v1, 0x4f7ffffe, v1
	v_cvt_u32_f32_e32 v1, v1
	v_readfirstlane_b32 s1, v1
	s_and_saveexec_b64 s[8:9], vcc
	s_cbranch_execz .LBB45_20
; %bb.1:
	s_sub_i32 s8, 0, s7
	s_mul_i32 s8, s8, s1
	s_mul_hi_u32 s8, s1, s8
	s_abs_i32 s54, s6
	s_add_i32 s1, s1, s8
	s_ashr_i32 s52, s6, 31
	s_ashr_i32 s53, s27, 31
	s_mul_hi_u32 s1, s54, s1
	s_xor_b32 s52, s52, s53
	s_mul_i32 s53, s1, s7
	s_sub_i32 s53, s54, s53
	s_add_i32 s54, s1, 1
	s_sub_i32 s55, s53, s7
	s_cmp_ge_u32 s53, s7
	s_cselect_b32 s1, s54, s1
	s_cselect_b32 s53, s55, s53
	s_add_i32 s54, s1, 1
	s_cmp_ge_u32 s53, s7
	s_load_dwordx8 s[36:43], s[4:5], 0x0
	s_load_dwordx2 s[34:35], s[4:5], 0x20
	s_load_dwordx16 s[8:23], s[4:5], 0x28
	s_load_dwordx8 s[44:51], s[4:5], 0x68
	s_cselect_b32 s1, s54, s1
	s_xor_b32 s1, s1, s52
	s_sub_i32 s1, s1, s52
	s_mul_i32 s7, s1, s27
	s_ashr_i32 s53, s1, 31
	s_sub_i32 s52, s6, s7
	s_waitcnt lgkmcnt(0)
	s_mul_i32 s6, s10, s53
	s_mul_hi_u32 s7, s10, s1
	s_add_i32 s6, s7, s6
	s_mul_i32 s7, s11, s1
	s_add_i32 s7, s6, s7
	s_mul_i32 s6, s10, s1
	s_lshl_b64 s[6:7], s[6:7], 1
	s_add_u32 s27, s36, s6
	s_addc_u32 s60, s37, s7
	s_mul_i32 s6, s46, s53
	s_mul_hi_u32 s7, s46, s1
	s_ashr_i32 s36, s52, 31
	s_add_i32 s6, s7, s6
	s_mul_i32 s7, s47, s1
	s_mul_i32 s10, s44, s36
	s_mul_hi_u32 s11, s44, s52
	s_add_i32 s7, s6, s7
	s_mul_i32 s6, s46, s1
	s_add_i32 s10, s11, s10
	s_mul_i32 s11, s45, s52
	s_add_i32 s11, s10, s11
	s_lshl_b64 s[6:7], s[6:7], 1
	s_mul_i32 s10, s44, s52
	s_add_u32 s37, s38, s6
	s_addc_u32 s38, s39, s7
	s_lshl_b64 s[6:7], s[10:11], 1
	s_add_u32 s61, s37, s6
	s_addc_u32 s62, s38, s7
	s_mul_i32 s6, s50, s53
	s_mul_hi_u32 s7, s50, s1
	s_add_i32 s6, s7, s6
	s_mul_i32 s7, s51, s1
	s_add_i32 s7, s6, s7
	s_mul_i32 s6, s50, s1
	s_mul_i32 s1, s48, s36
	s_mul_hi_u32 s10, s48, s52
	s_add_i32 s1, s10, s1
	s_mul_i32 s10, s49, s52
	s_add_i32 s11, s1, s10
	s_lshl_b64 s[6:7], s[6:7], 1
	s_mul_i32 s10, s48, s52
	s_add_u32 s1, s34, s6
	s_addc_u32 s34, s35, s7
	s_lshl_b64 s[6:7], s[10:11], 1
	s_add_u32 s6, s1, s6
	s_addc_u32 s7, s34, s7
	s_cmp_lt_i32 s26, 1
	s_cselect_b64 s[10:11], -1, 0
	s_cmp_gt_i32 s29, 0
	s_cselect_b64 s[34:35], -1, 0
	s_cmp_gt_i32 s30, 0
	s_cselect_b64 s[44:45], -1, 0
	s_abs_i32 s63, s28
	v_cvt_f32_u32_e32 v1, s63
	s_abs_i32 s64, s2
	v_cvt_f32_u32_e32 v2, s64
	s_abs_i32 s66, s3
	v_rcp_iflag_f32_e32 v1, v1
	v_cvt_f32_u32_e32 v3, s66
	v_rcp_iflag_f32_e32 v2, v2
	s_sub_i32 s2, 0, s63
	v_mul_f32_e32 v1, 0x4f7ffffe, v1
	v_rcp_iflag_f32_e32 v3, v3
	v_cvt_u32_f32_e32 v1, v1
	v_mul_f32_e32 v2, 0x4f7ffffe, v2
	v_cvt_u32_f32_e32 v2, v2
	v_mul_f32_e32 v3, 0x4f7ffffe, v3
	v_cmp_neq_f64_e64 s[46:47], s[40:41], 1.0
	v_cmp_neq_f64_e64 s[48:49], s[42:43], 0
	v_mul_lo_u32 v4, s2, v1
	v_cvt_u32_f32_e32 v3, v3
	s_sub_i32 s2, 0, s64
	s_load_dwordx4 s[36:39], s[4:5], 0x88
	v_mul_lo_u32 v5, s2, v2
	s_sub_i32 s2, 0, s66
	v_mul_lo_u32 v6, s2, v3
	v_mul_hi_u32 v4, v1, v4
	s_sub_i32 s65, 0, s0
	s_load_dwordx2 s[0:1], s[4:5], 0x98
	s_load_dword s2, s[4:5], 0xec
	s_or_b64 s[46:47], s[46:47], s[48:49]
	s_waitcnt lgkmcnt(0)
	s_lshl_b64 s[48:49], s[38:39], 1
	s_lshl_b64 s[50:51], s[36:37], 1
	s_load_dwordx4 s[36:39], s[4:5], 0xc0
	v_mul_hi_u32 v7, v2, v5
	v_add_u32_e32 v5, v1, v4
	v_mul_hi_u32 v1, v3, v6
	s_and_b32 s67, s2, 0xffff
	v_mov_b32_e32 v6, 0
	v_add_u32_e32 v7, v2, v7
	s_ashr_i32 s68, s3, 31
	v_add_u32_e32 v8, v3, v1
	s_lshl_b64 s[52:53], s[0:1], 1
	v_mov_b32_e32 v9, 0x7c00
	v_mov_b32_e32 v10, 0x7e00
	s_ashr_i32 s69, s28, 31
	s_movk_i32 s70, 0x1ff
	s_movk_i32 s71, 0xffe
	;; [unrolled: 1-line block ×3, first 2 shown]
	s_mov_b32 s73, 0x8000
	s_mov_b64 s[54:55], 0
	s_branch .LBB45_3
.LBB45_2:                               ;   in Loop: Header=BB45_3 Depth=1
	v_add_u32_e32 v0, s67, v0
	v_cmp_le_i32_e32 vcc, s33, v0
	s_or_b64 s[54:55], vcc, s[54:55]
	s_andn2_b64 exec, exec, s[54:55]
	s_cbranch_execz .LBB45_20
.LBB45_3:                               ; =>This Loop Header: Depth=1
                                        ;     Child Loop BB45_8 Depth 2
                                        ;       Child Loop BB45_11 Depth 3
                                        ;         Child Loop BB45_14 Depth 4
	v_sub_u32_e32 v1, 0, v0
	v_max_i32_e32 v4, v0, v1
	v_mul_hi_u32 v2, v4, v5
	v_ashrrev_i32_e32 v1, 31, v0
	v_xor_b32_e32 v11, s69, v1
	s_mov_b64 s[56:57], -1
	v_mul_lo_u32 v3, v2, s63
	v_add_u32_e32 v12, 1, v2
	v_sub_u32_e32 v3, v4, v3
	v_cmp_le_u32_e32 vcc, s63, v3
	v_cndmask_b32_e32 v2, v2, v12, vcc
	v_subrev_u32_e32 v12, s63, v3
	v_cndmask_b32_e32 v3, v3, v12, vcc
	v_add_u32_e32 v12, 1, v2
	v_cmp_le_u32_e32 vcc, s63, v3
	v_cndmask_b32_e32 v2, v2, v12, vcc
	v_xor_b32_e32 v2, v2, v11
	v_sub_u32_e32 v2, v2, v11
	v_sub_u32_e32 v3, 0, v2
	v_max_i32_e32 v11, v2, v3
	v_mul_hi_u32 v3, v11, v7
	v_mul_hi_u32 v12, v4, v8
	v_mul_lo_u32 v13, v2, s28
	v_mul_lo_u32 v14, v3, s64
	;; [unrolled: 1-line block ×3, first 2 shown]
	v_sub_u32_e32 v3, v0, v13
	v_sub_u32_e32 v11, v11, v14
	v_subrev_u32_e32 v13, s64, v11
	v_cmp_le_u32_e32 vcc, s64, v11
	v_sub_u32_e32 v4, v4, v15
	v_cndmask_b32_e32 v11, v11, v13, vcc
	v_subrev_u32_e32 v13, s66, v4
	v_cmp_le_u32_e64 s[0:1], s66, v4
	v_cndmask_b32_e64 v4, v4, v13, s[0:1]
	v_cmp_le_u32_e64 s[4:5], s64, v11
	v_cmp_le_u32_e64 s[2:3], s66, v4
	s_andn2_b64 vcc, exec, s[10:11]
	v_ashrrev_i32_e32 v4, 31, v3
	s_cbranch_vccnz .LBB45_5
; %bb.4:                                ;   in Loop: Header=BB45_3 Depth=1
	s_mov_b64 s[56:57], 0
.LBB45_5:                               ;   in Loop: Header=BB45_3 Depth=1
	v_subrev_u32_e32 v13, s64, v11
	v_ashrrev_i32_e32 v2, 31, v2
	v_cndmask_b32_e64 v11, v11, v13, s[4:5]
	v_xor_b32_e32 v13, s68, v1
	v_add_u32_e32 v1, 1, v12
	v_xor_b32_e32 v11, v11, v2
	v_cndmask_b32_e64 v1, v12, v1, s[0:1]
	v_sub_u32_e32 v11, v11, v2
	v_add_u32_e32 v2, 1, v1
	v_cndmask_b32_e64 v1, v1, v2, s[2:3]
	v_xor_b32_e32 v12, v1, v13
	v_mov_b32_e32 v1, 0
	v_mov_b32_e32 v2, 0
	s_andn2_b64 vcc, exec, s[56:57]
	v_sub_u32_e32 v12, v12, v13
	s_cbranch_vccnz .LBB45_16
; %bb.6:                                ;   in Loop: Header=BB45_3 Depth=1
	v_mul_lo_u32 v14, s9, v3
	v_mul_lo_u32 v15, s8, v4
	v_mad_u64_u32 v[1:2], s[0:1], s8, v3, 0
	s_waitcnt lgkmcnt(0)
	v_mul_lo_u32 v16, v11, s38
	v_mul_lo_u32 v13, v12, s37
	v_add3_u32 v2, v2, v15, v14
	v_lshlrev_b64 v[1:2], 1, v[1:2]
	v_mov_b32_e32 v15, s60
	v_add_co_u32_e32 v14, vcc, s27, v1
	v_addc_co_u32_e32 v15, vcc, v15, v2, vcc
	v_mov_b32_e32 v1, 0
	v_add_u32_e32 v16, s65, v16
	v_mov_b32_e32 v2, 0
	s_mov_b32 s74, 0
	s_mov_b64 s[2:3], s[6:7]
	s_branch .LBB45_8
.LBB45_7:                               ;   in Loop: Header=BB45_8 Depth=2
	s_add_i32 s74, s74, 1
	s_add_u32 s2, s2, s52
	s_addc_u32 s3, s3, s53
	s_cmp_eq_u32 s74, s26
	s_cbranch_scc1 .LBB45_16
.LBB45_8:                               ;   Parent Loop BB45_3 Depth=1
                                        ; =>  This Loop Header: Depth=2
                                        ;       Child Loop BB45_11 Depth 3
                                        ;         Child Loop BB45_14 Depth 4
	s_andn2_b64 vcc, exec, s[34:35]
	s_cbranch_vccnz .LBB45_7
; %bb.9:                                ;   in Loop: Header=BB45_8 Depth=2
	s_mul_i32 s0, s17, s74
	s_mul_hi_u32 s1, s16, s74
	s_add_i32 s1, s1, s0
	s_mul_i32 s0, s16, s74
	s_lshl_b64 s[0:1], s[0:1], 1
	v_mov_b32_e32 v18, s1
	v_add_co_u32_e32 v17, vcc, s0, v14
	v_addc_co_u32_e32 v18, vcc, v15, v18, vcc
	s_mov_b32 s75, 0
	s_mov_b64 s[4:5], s[2:3]
	s_branch .LBB45_11
.LBB45_10:                              ;   in Loop: Header=BB45_11 Depth=3
	s_add_i32 s75, s75, 1
	s_add_u32 s4, s4, s48
	s_addc_u32 s5, s5, s49
	s_cmp_eq_u32 s75, s29
	s_cbranch_scc1 .LBB45_7
.LBB45_11:                              ;   Parent Loop BB45_3 Depth=1
                                        ;     Parent Loop BB45_8 Depth=2
                                        ; =>    This Loop Header: Depth=3
                                        ;         Child Loop BB45_14 Depth 4
	s_andn2_b64 vcc, exec, s[44:45]
	s_cbranch_vccnz .LBB45_10
; %bb.12:                               ;   in Loop: Header=BB45_11 Depth=3
	s_mul_i32 s0, s75, s31
	s_sub_i32 s0, s0, s39
	v_add_u32_e32 v22, s0, v13
	v_mad_u64_u32 v[19:20], s[0:1], s14, v22, 0
	v_cmp_gt_i32_e32 vcc, 0, v22
	s_mov_b64 s[58:59], s[4:5]
	v_mad_u64_u32 v[20:21], s[0:1], s15, v22, v[20:21]
	v_cmp_le_i32_e64 s[0:1], s24, v22
	s_or_b64 s[56:57], vcc, s[0:1]
	v_lshlrev_b64 v[19:20], 1, v[19:20]
	v_mov_b32_e32 v21, v16
	v_add_co_u32_e32 v19, vcc, v17, v19
	v_addc_co_u32_e32 v20, vcc, v18, v20, vcc
	s_mov_b32 s76, s30
	s_branch .LBB45_14
.LBB45_13:                              ;   in Loop: Header=BB45_14 Depth=4
	s_or_b64 exec, exec, s[0:1]
	s_add_i32 s76, s76, -1
	s_add_u32 s58, s58, s50
	s_addc_u32 s59, s59, s51
	s_cmp_eq_u32 s76, 0
	v_add_u32_e32 v21, s36, v21
	s_cbranch_scc1 .LBB45_10
.LBB45_14:                              ;   Parent Loop BB45_3 Depth=1
                                        ;     Parent Loop BB45_8 Depth=2
                                        ;       Parent Loop BB45_11 Depth=3
                                        ; =>      This Inner Loop Header: Depth=4
	v_cmp_gt_i32_e32 vcc, 0, v21
	v_cmp_le_i32_e64 s[0:1], s25, v21
	s_or_b64 s[0:1], vcc, s[0:1]
	s_nor_b64 s[78:79], s[56:57], s[0:1]
	s_and_saveexec_b64 s[0:1], s[78:79]
	s_cbranch_execz .LBB45_13
; %bb.15:                               ;   in Loop: Header=BB45_14 Depth=4
	v_mad_u64_u32 v[22:23], s[78:79], s12, v21, 0
	v_mad_u64_u32 v[23:24], s[78:79], s13, v21, v[23:24]
	v_lshlrev_b64 v[22:23], 1, v[22:23]
	v_add_co_u32_e32 v22, vcc, v19, v22
	v_addc_co_u32_e32 v23, vcc, v20, v23, vcc
	global_load_ushort v22, v[22:23], off
	s_nop 0
	global_load_ushort v23, v6, s[58:59]
	s_waitcnt vmcnt(1)
	v_cvt_f32_f16_e32 v22, v22
	s_waitcnt vmcnt(0)
	v_cvt_f32_f16_e32 v24, v23
	v_cvt_f64_f32_e32 v[22:23], v22
	v_cvt_f64_f32_e32 v[24:25], v24
	v_fma_f64 v[1:2], v[22:23], v[24:25], v[1:2]
	s_branch .LBB45_13
.LBB45_16:                              ;   in Loop: Header=BB45_3 Depth=1
	v_ashrrev_i32_e32 v13, 31, v11
	v_mul_lo_u32 v15, s21, v11
	v_mul_lo_u32 v16, s20, v13
	v_mad_u64_u32 v[13:14], s[0:1], s20, v11, 0
	v_ashrrev_i32_e32 v11, 31, v12
	v_mul_lo_u32 v11, s22, v11
	v_add3_u32 v14, v14, v16, v15
	v_mad_u64_u32 v[13:14], s[0:1], s22, v12, v[13:14]
	v_mul_lo_u32 v12, s23, v12
	v_mul_lo_u32 v4, v4, s18
	s_and_b64 vcc, exec, s[46:47]
	v_add3_u32 v14, v12, v14, v11
	v_mad_u64_u32 v[11:12], s[0:1], v3, s18, v[13:14]
	v_mul_lo_u32 v3, v3, s19
	s_mov_b64 s[0:1], -1
	v_add3_u32 v12, v4, v12, v3
	v_lshlrev_b64 v[3:4], 1, v[11:12]
	s_cbranch_vccz .LBB45_18
; %bb.17:                               ;   in Loop: Header=BB45_3 Depth=1
	v_mov_b32_e32 v12, s62
	v_add_co_u32_e32 v11, vcc, s61, v3
	v_addc_co_u32_e32 v12, vcc, v12, v4, vcc
	global_load_ushort v13, v[11:12], off
	s_mov_b64 s[0:1], 0
	s_waitcnt vmcnt(0)
	v_cvt_f32_f16_e32 v13, v13
	v_cvt_f64_f32_e32 v[13:14], v13
	v_mul_f64 v[13:14], s[42:43], v[13:14]
	v_fma_f64 v[13:14], s[40:41], v[1:2], v[13:14]
	v_and_or_b32 v13, v14, s70, v13
	v_cmp_ne_u32_e32 vcc, 0, v13
	v_lshrrev_b32_e32 v15, 8, v14
	v_bfe_u32 v16, v14, 20, 11
	v_cndmask_b32_e64 v13, 0, 1, vcc
	v_sub_u32_e32 v17, 0x3f1, v16
	v_and_or_b32 v13, v15, s71, v13
	v_med3_i32 v15, v17, 0, 13
	v_or_b32_e32 v17, 0x1000, v13
	v_lshrrev_b32_e32 v19, v15, v17
	v_add_u32_e32 v16, 0xfffffc10, v16
	v_cmp_ne_u32_e32 vcc, 0, v13
	v_lshlrev_b32_e32 v15, v15, v19
	v_lshl_or_b32 v18, v16, 12, v13
	v_cndmask_b32_e32 v13, v9, v10, vcc
	v_cmp_ne_u32_e32 vcc, v15, v17
	v_cndmask_b32_e64 v15, 0, 1, vcc
	v_or_b32_e32 v15, v19, v15
	v_cmp_gt_i32_e32 vcc, 1, v16
	v_cndmask_b32_e32 v15, v18, v15, vcc
	v_and_b32_e32 v17, 7, v15
	v_cmp_lt_i32_e32 vcc, 5, v17
	v_cndmask_b32_e64 v18, 0, 1, vcc
	v_cmp_eq_u32_e32 vcc, 3, v17
	v_cndmask_b32_e64 v17, 0, 1, vcc
	v_lshrrev_b32_e32 v15, 2, v15
	v_or_b32_e32 v17, v17, v18
	v_add_u32_e32 v15, v15, v17
	v_cmp_gt_i32_e32 vcc, 31, v16
	v_cndmask_b32_e32 v15, v9, v15, vcc
	v_cmp_eq_u32_e32 vcc, s72, v16
	v_lshrrev_b32_e32 v14, 16, v14
	v_cndmask_b32_e32 v13, v15, v13, vcc
	v_and_or_b32 v13, v14, s73, v13
	global_store_short v[11:12], v13, off
.LBB45_18:                              ;   in Loop: Header=BB45_3 Depth=1
	s_andn2_b64 vcc, exec, s[0:1]
	s_cbranch_vccnz .LBB45_2
; %bb.19:                               ;   in Loop: Header=BB45_3 Depth=1
	v_and_or_b32 v1, v2, s70, v1
	v_cmp_ne_u32_e32 vcc, 0, v1
	v_cndmask_b32_e64 v1, 0, 1, vcc
	v_lshrrev_b32_e32 v11, 8, v2
	v_bfe_u32 v12, v2, 20, 11
	v_and_or_b32 v1, v11, s71, v1
	v_sub_u32_e32 v13, 0x3f1, v12
	v_or_b32_e32 v11, 0x1000, v1
	v_med3_i32 v13, v13, 0, 13
	v_lshrrev_b32_e32 v14, v13, v11
	v_lshlrev_b32_e32 v13, v13, v14
	v_cmp_ne_u32_e32 vcc, v13, v11
	v_cndmask_b32_e64 v11, 0, 1, vcc
	v_add_u32_e32 v12, 0xfffffc10, v12
	v_or_b32_e32 v11, v14, v11
	v_lshl_or_b32 v13, v12, 12, v1
	v_cmp_gt_i32_e32 vcc, 1, v12
	v_cndmask_b32_e32 v11, v13, v11, vcc
	v_and_b32_e32 v13, 7, v11
	v_cmp_lt_i32_e32 vcc, 5, v13
	v_cndmask_b32_e64 v14, 0, 1, vcc
	v_cmp_eq_u32_e32 vcc, 3, v13
	v_cndmask_b32_e64 v13, 0, 1, vcc
	v_or_b32_e32 v13, v13, v14
	v_lshrrev_b32_e32 v11, 2, v11
	v_add_u32_e32 v11, v11, v13
	v_cmp_gt_i32_e32 vcc, 31, v12
	v_cndmask_b32_e32 v11, v9, v11, vcc
	v_cmp_ne_u32_e32 vcc, 0, v1
	v_cndmask_b32_e32 v1, v9, v10, vcc
	v_cmp_eq_u32_e32 vcc, s72, v12
	v_cndmask_b32_e32 v1, v11, v1, vcc
	v_lshrrev_b32_e32 v2, 16, v2
	v_and_or_b32 v11, v2, s73, v1
	v_mov_b32_e32 v2, s62
	v_add_co_u32_e32 v1, vcc, s61, v3
	v_addc_co_u32_e32 v2, vcc, v2, v4, vcc
	global_store_short v[1:2], v11, off
	s_branch .LBB45_2
.LBB45_20:
	s_endpgm
	.section	.rodata,"a",@progbits
	.p2align	6, 0x0
	.amdhsa_kernel naive_conv_ab_nonpacked_wrw_nhwc_half_double_half
		.amdhsa_group_segment_fixed_size 0
		.amdhsa_private_segment_fixed_size 0
		.amdhsa_kernarg_size 480
		.amdhsa_user_sgpr_count 6
		.amdhsa_user_sgpr_private_segment_buffer 1
		.amdhsa_user_sgpr_dispatch_ptr 0
		.amdhsa_user_sgpr_queue_ptr 0
		.amdhsa_user_sgpr_kernarg_segment_ptr 1
		.amdhsa_user_sgpr_dispatch_id 0
		.amdhsa_user_sgpr_flat_scratch_init 0
		.amdhsa_user_sgpr_private_segment_size 0
		.amdhsa_uses_dynamic_stack 0
		.amdhsa_system_sgpr_private_segment_wavefront_offset 0
		.amdhsa_system_sgpr_workgroup_id_x 1
		.amdhsa_system_sgpr_workgroup_id_y 0
		.amdhsa_system_sgpr_workgroup_id_z 0
		.amdhsa_system_sgpr_workgroup_info 0
		.amdhsa_system_vgpr_workitem_id 0
		.amdhsa_next_free_vgpr 26
		.amdhsa_next_free_sgpr 80
		.amdhsa_reserve_vcc 1
		.amdhsa_reserve_flat_scratch 0
		.amdhsa_float_round_mode_32 0
		.amdhsa_float_round_mode_16_64 0
		.amdhsa_float_denorm_mode_32 3
		.amdhsa_float_denorm_mode_16_64 3
		.amdhsa_dx10_clamp 1
		.amdhsa_ieee_mode 1
		.amdhsa_fp16_overflow 0
		.amdhsa_exception_fp_ieee_invalid_op 0
		.amdhsa_exception_fp_denorm_src 0
		.amdhsa_exception_fp_ieee_div_zero 0
		.amdhsa_exception_fp_ieee_overflow 0
		.amdhsa_exception_fp_ieee_underflow 0
		.amdhsa_exception_fp_ieee_inexact 0
		.amdhsa_exception_int_div_zero 0
	.end_amdhsa_kernel
	.text
.Lfunc_end45:
	.size	naive_conv_ab_nonpacked_wrw_nhwc_half_double_half, .Lfunc_end45-naive_conv_ab_nonpacked_wrw_nhwc_half_double_half
                                        ; -- End function
	.set naive_conv_ab_nonpacked_wrw_nhwc_half_double_half.num_vgpr, 26
	.set naive_conv_ab_nonpacked_wrw_nhwc_half_double_half.num_agpr, 0
	.set naive_conv_ab_nonpacked_wrw_nhwc_half_double_half.numbered_sgpr, 80
	.set naive_conv_ab_nonpacked_wrw_nhwc_half_double_half.num_named_barrier, 0
	.set naive_conv_ab_nonpacked_wrw_nhwc_half_double_half.private_seg_size, 0
	.set naive_conv_ab_nonpacked_wrw_nhwc_half_double_half.uses_vcc, 1
	.set naive_conv_ab_nonpacked_wrw_nhwc_half_double_half.uses_flat_scratch, 0
	.set naive_conv_ab_nonpacked_wrw_nhwc_half_double_half.has_dyn_sized_stack, 0
	.set naive_conv_ab_nonpacked_wrw_nhwc_half_double_half.has_recursion, 0
	.set naive_conv_ab_nonpacked_wrw_nhwc_half_double_half.has_indirect_call, 0
	.section	.AMDGPU.csdata,"",@progbits
; Kernel info:
; codeLenInByte = 2000
; TotalNumSgprs: 84
; NumVgprs: 26
; ScratchSize: 0
; MemoryBound: 0
; FloatMode: 240
; IeeeMode: 1
; LDSByteSize: 0 bytes/workgroup (compile time only)
; SGPRBlocks: 10
; VGPRBlocks: 6
; NumSGPRsForWavesPerEU: 84
; NumVGPRsForWavesPerEU: 26
; Occupancy: 9
; WaveLimiterHint : 0
; COMPUTE_PGM_RSRC2:SCRATCH_EN: 0
; COMPUTE_PGM_RSRC2:USER_SGPR: 6
; COMPUTE_PGM_RSRC2:TRAP_HANDLER: 0
; COMPUTE_PGM_RSRC2:TGID_X_EN: 1
; COMPUTE_PGM_RSRC2:TGID_Y_EN: 0
; COMPUTE_PGM_RSRC2:TGID_Z_EN: 0
; COMPUTE_PGM_RSRC2:TIDIG_COMP_CNT: 0
	.text
	.protected	naive_conv_ab_packed_wrw_nhwc_ushort_double_ushort ; -- Begin function naive_conv_ab_packed_wrw_nhwc_ushort_double_ushort
	.globl	naive_conv_ab_packed_wrw_nhwc_ushort_double_ushort
	.p2align	8
	.type	naive_conv_ab_packed_wrw_nhwc_ushort_double_ushort,@function
naive_conv_ab_packed_wrw_nhwc_ushort_double_ushort: ; @naive_conv_ab_packed_wrw_nhwc_ushort_double_ushort
; %bb.0:
	s_load_dwordx16 s[8:23], s[4:5], 0xa0
	s_waitcnt lgkmcnt(0)
	s_abs_i32 s3, s11
	v_cvt_f32_u32_e32 v1, s3
	s_mul_i32 s2, s22, s12
	s_mul_i32 s33, s2, s21
	v_cmp_gt_i32_e32 vcc, s33, v0
	v_rcp_iflag_f32_e32 v1, v1
	v_mul_f32_e32 v1, 0x4f7ffffe, v1
	v_cvt_u32_f32_e32 v1, v1
	v_readfirstlane_b32 s7, v1
	s_and_saveexec_b64 s[0:1], vcc
	s_cbranch_execz .LBB46_20
; %bb.1:
	s_sub_i32 s37, 0, s3
	s_mul_i32 s37, s37, s7
	s_mul_hi_u32 s37, s7, s37
	s_abs_i32 s36, s6
	s_add_i32 s7, s7, s37
	s_ashr_i32 s34, s6, 31
	s_ashr_i32 s35, s11, 31
	s_mul_hi_u32 s7, s36, s7
	s_xor_b32 s34, s34, s35
	s_mul_i32 s35, s7, s3
	s_sub_i32 s35, s36, s35
	s_add_i32 s36, s7, 1
	s_sub_i32 s37, s35, s3
	s_cmp_ge_u32 s35, s3
	s_cselect_b32 s7, s36, s7
	s_cselect_b32 s35, s37, s35
	s_add_i32 s36, s7, 1
	s_cmp_ge_u32 s35, s3
	s_cselect_b32 s3, s36, s7
	s_load_dwordx8 s[24:31], s[4:5], 0x0
	s_load_dwordx2 s[0:1], s[4:5], 0x20
	s_xor_b32 s3, s3, s34
	s_sub_i32 s3, s3, s34
	s_mul_i32 s34, s3, s11
	s_mul_hi_i32 s37, s3, s12
	s_mul_i32 s36, s3, s12
	s_sub_i32 s6, s6, s34
	s_ashr_i32 s48, s12, 31
	s_lshl_b64 s[36:37], s[36:37], 1
	s_waitcnt lgkmcnt(0)
	s_add_u32 s50, s24, s36
	s_addc_u32 s51, s25, s37
	s_mul_hi_i32 s35, s3, s11
	s_ashr_i32 s3, s22, 31
	s_ashr_i32 s7, s6, 31
	s_mul_hi_i32 s36, s21, s12
	s_mul_i32 s21, s21, s12
	s_add_u32 s24, s34, s6
	s_mul_i32 s3, s21, s3
	s_mul_hi_u32 s37, s21, s22
	s_addc_u32 s25, s35, s7
	s_add_i32 s3, s37, s3
	s_mul_i32 s36, s36, s22
	s_mul_i32 s21, s21, s22
	s_add_i32 s3, s3, s36
	s_mul_i32 s25, s21, s25
	s_mul_hi_u32 s36, s21, s24
	s_add_i32 s25, s36, s25
	s_mul_i32 s3, s3, s24
	s_add_i32 s25, s25, s3
	s_mul_i32 s24, s21, s24
	s_lshl_b64 s[24:25], s[24:25], 1
	s_add_u32 s52, s26, s24
	s_addc_u32 s53, s27, s25
	s_lshl_b64 s[24:25], s[34:35], 1
	s_load_dword s3, s[4:5], 0xec
	s_add_u32 s4, s0, s24
	s_addc_u32 s5, s1, s25
	s_lshl_b64 s[0:1], s[6:7], 1
	s_add_u32 s6, s4, s0
	s_addc_u32 s7, s5, s1
	s_cmp_lt_i32 s10, 1
	s_cselect_b64 s[24:25], -1, 0
	s_cmp_gt_i32 s13, 0
	s_cselect_b64 s[26:27], -1, 0
	s_cmp_gt_i32 s14, 0
	s_mov_b32 s49, s12
	s_mul_i32 s54, s23, s12
	s_cselect_b64 s[34:35], -1, 0
	s_abs_i32 s12, s12
	v_cvt_f32_u32_e32 v1, s12
	s_abs_i32 s58, s22
	v_cvt_f32_u32_e32 v2, s58
	s_abs_i32 s59, s2
	v_rcp_iflag_f32_e32 v1, v1
	v_cvt_f32_u32_e32 v3, s59
	v_cmp_neq_f64_e64 s[4:5], s[28:29], 1.0
	v_cmp_neq_f64_e64 s[38:39], s[30:31], 0
	v_rcp_iflag_f32_e32 v2, v2
	v_mul_f32_e32 v1, 0x4f7ffffe, v1
	v_rcp_iflag_f32_e32 v3, v3
	v_cvt_u32_f32_e32 v1, v1
	v_mul_f32_e32 v2, 0x4f7ffffe, v2
	s_sub_i32 s40, 0, s12
	v_cvt_u32_f32_e32 v2, v2
	v_mul_f32_e32 v3, 0x4f7ffffe, v3
	v_mul_lo_u32 v4, s40, v1
	v_cvt_u32_f32_e32 v3, v3
	s_or_b64 s[38:39], s[4:5], s[38:39]
	s_sub_i32 s4, 0, s58
	v_mul_lo_u32 v5, s4, v2
	s_sub_i32 s4, 0, s59
	v_mul_hi_u32 v4, v1, v4
	v_mul_lo_u32 v6, s4, v3
	s_mul_i32 s0, s23, s11
	s_ashr_i32 s21, s13, 31
	s_ashr_i32 s61, s2, 31
	s_mul_i32 s2, s14, s0
	s_waitcnt lgkmcnt(0)
	s_and_b32 s60, s3, 0xffff
	v_mul_hi_u32 v5, v2, v5
	v_add_u32_e32 v8, v1, v4
	v_mul_hi_u32 v1, v3, v6
	s_mul_i32 s3, s2, s21
	s_mul_hi_u32 s4, s2, s13
	s_add_i32 s4, s4, s3
	s_mul_hi_i32 s3, s14, s0
	s_mul_i32 s5, s3, s13
	s_ashr_i32 s1, s0, 31
	s_add_i32 s5, s4, s5
	s_mul_i32 s4, s2, s13
	s_ashr_i32 s11, s8, 31
	s_mov_b32 s23, s8
	s_ashr_i32 s55, s9, 31
	s_mov_b32 s56, s9
	s_ashr_i32 s57, s54, 31
	s_mov_b64 s[36:37], 0
	v_mov_b32_e32 v9, 0
	v_add_u32_e32 v10, v2, v5
	v_add_u32_e32 v11, v3, v1
	s_lshl_b64 s[40:41], s[4:5], 1
	s_lshl_b64 s[42:43], s[2:3], 1
	;; [unrolled: 1-line block ×3, first 2 shown]
	s_sub_i32 s62, 0, s20
	s_mov_b32 s63, 0x7f800000
	s_branch .LBB46_3
.LBB46_2:                               ;   in Loop: Header=BB46_3 Depth=1
	v_add_u32_e32 v0, s60, v0
	v_cmp_le_i32_e32 vcc, s33, v0
	s_or_b64 s[36:37], vcc, s[36:37]
	s_andn2_b64 exec, exec, s[36:37]
	s_cbranch_execz .LBB46_20
.LBB46_3:                               ; =>This Loop Header: Depth=1
                                        ;     Child Loop BB46_8 Depth 2
                                        ;       Child Loop BB46_11 Depth 3
                                        ;         Child Loop BB46_14 Depth 4
	v_sub_u32_e32 v1, 0, v0
	v_max_i32_e32 v2, v0, v1
	v_mul_hi_u32 v1, v2, v8
	v_ashrrev_i32_e32 v3, 31, v0
	v_xor_b32_e32 v5, s48, v3
	s_mov_b64 s[20:21], -1
	v_mul_lo_u32 v4, v1, s12
	v_add_u32_e32 v6, 1, v1
	v_sub_u32_e32 v4, v2, v4
	v_cmp_le_u32_e32 vcc, s12, v4
	v_cndmask_b32_e32 v1, v1, v6, vcc
	v_subrev_u32_e32 v6, s12, v4
	v_cndmask_b32_e32 v4, v4, v6, vcc
	v_add_u32_e32 v6, 1, v1
	v_cmp_le_u32_e32 vcc, s12, v4
	v_cndmask_b32_e32 v1, v1, v6, vcc
	v_xor_b32_e32 v1, v1, v5
	v_sub_u32_e32 v4, v1, v5
	v_sub_u32_e32 v1, 0, v4
	v_max_i32_e32 v5, v4, v1
	v_mul_hi_u32 v1, v5, v10
	v_mul_hi_u32 v6, v2, v11
	v_mul_lo_u32 v7, v4, s49
	v_mul_lo_u32 v12, v1, s58
	;; [unrolled: 1-line block ×3, first 2 shown]
	v_sub_u32_e32 v1, v0, v7
	v_sub_u32_e32 v5, v5, v12
	v_subrev_u32_e32 v7, s58, v5
	v_cmp_le_u32_e32 vcc, s58, v5
	v_sub_u32_e32 v2, v2, v13
	v_cndmask_b32_e32 v5, v5, v7, vcc
	v_subrev_u32_e32 v7, s59, v2
	v_cmp_le_u32_e64 s[0:1], s59, v2
	v_cndmask_b32_e64 v2, v2, v7, s[0:1]
	v_cmp_le_u32_e64 s[4:5], s58, v5
	v_cmp_le_u32_e64 s[2:3], s59, v2
	s_andn2_b64 vcc, exec, s[24:25]
	v_ashrrev_i32_e32 v2, 31, v1
	s_cbranch_vccnz .LBB46_5
; %bb.4:                                ;   in Loop: Header=BB46_3 Depth=1
	s_mov_b64 s[20:21], 0
.LBB46_5:                               ;   in Loop: Header=BB46_3 Depth=1
	v_subrev_u32_e32 v7, s58, v5
	v_ashrrev_i32_e32 v4, 31, v4
	v_cndmask_b32_e64 v5, v5, v7, s[4:5]
	v_xor_b32_e32 v7, s61, v3
	v_add_u32_e32 v3, 1, v6
	v_xor_b32_e32 v5, v5, v4
	v_cndmask_b32_e64 v3, v6, v3, s[0:1]
	v_sub_u32_e32 v5, v5, v4
	v_add_u32_e32 v4, 1, v3
	v_cndmask_b32_e64 v3, v3, v4, s[2:3]
	v_xor_b32_e32 v6, v3, v7
	v_mov_b32_e32 v3, 0
	v_mov_b32_e32 v4, 0
	s_andn2_b64 vcc, exec, s[20:21]
	v_sub_u32_e32 v12, v6, v7
	s_cbranch_vccnz .LBB46_16
; %bb.6:                                ;   in Loop: Header=BB46_3 Depth=1
	v_mul_lo_u32 v6, v5, s18
	v_lshlrev_b64 v[3:4], 1, v[1:2]
	v_mul_lo_u32 v13, v12, s17
	v_mov_b32_e32 v7, s51
	v_add_co_u32_e32 v14, vcc, s50, v3
	v_addc_co_u32_e32 v15, vcc, v7, v4, vcc
	v_mov_b32_e32 v3, 0
	v_add_u32_e32 v16, s62, v6
	v_mov_b32_e32 v4, 0
	s_mov_b32 s64, 0
	s_mov_b64 s[2:3], s[6:7]
	s_branch .LBB46_8
.LBB46_7:                               ;   in Loop: Header=BB46_8 Depth=2
	s_add_i32 s64, s64, 1
	s_add_u32 s2, s2, s40
	s_addc_u32 s3, s3, s41
	s_cmp_eq_u32 s64, s10
	s_cbranch_scc1 .LBB46_16
.LBB46_8:                               ;   Parent Loop BB46_3 Depth=1
                                        ; =>  This Loop Header: Depth=2
                                        ;       Child Loop BB46_11 Depth 3
                                        ;         Child Loop BB46_14 Depth 4
	s_andn2_b64 vcc, exec, s[26:27]
	s_cbranch_vccnz .LBB46_7
; %bb.9:                                ;   in Loop: Header=BB46_8 Depth=2
	s_mul_i32 s0, s64, s11
	s_mul_hi_u32 s1, s64, s23
	s_add_i32 s65, s1, s0
	s_mul_i32 s66, s64, s23
	s_mov_b32 s67, 0
	s_mov_b64 s[4:5], s[2:3]
	s_branch .LBB46_11
.LBB46_10:                              ;   in Loop: Header=BB46_11 Depth=3
	s_add_i32 s67, s67, 1
	s_add_u32 s4, s4, s42
	s_addc_u32 s5, s5, s43
	s_cmp_eq_u32 s67, s13
	s_cbranch_scc1 .LBB46_7
.LBB46_11:                              ;   Parent Loop BB46_3 Depth=1
                                        ;     Parent Loop BB46_8 Depth=2
                                        ; =>    This Loop Header: Depth=3
                                        ;         Child Loop BB46_14 Depth 4
	s_andn2_b64 vcc, exec, s[34:35]
	s_cbranch_vccnz .LBB46_10
; %bb.12:                               ;   in Loop: Header=BB46_11 Depth=3
	s_mul_i32 s0, s67, s15
	s_sub_i32 s0, s0, s19
	v_add_u32_e32 v17, s0, v13
	v_mov_b32_e32 v6, s65
	v_add_co_u32_e32 v7, vcc, s66, v17
	v_addc_co_u32_e32 v6, vcc, 0, v6, vcc
	v_mul_lo_u32 v18, v6, s56
	v_mul_lo_u32 v19, v7, s55
	v_mad_u64_u32 v[6:7], s[0:1], v7, s56, 0
	v_cmp_gt_i32_e32 vcc, 0, v17
	v_cmp_le_i32_e64 s[0:1], s8, v17
	s_or_b64 s[20:21], vcc, s[0:1]
	v_add3_u32 v7, v7, v19, v18
	v_mov_b32_e32 v17, v16
	s_mov_b64 s[46:47], s[4:5]
	s_mov_b32 s68, s14
	s_branch .LBB46_14
.LBB46_13:                              ;   in Loop: Header=BB46_14 Depth=4
	s_or_b64 exec, exec, s[0:1]
	s_add_i32 s68, s68, -1
	s_add_u32 s46, s46, s44
	s_addc_u32 s47, s47, s45
	s_cmp_eq_u32 s68, 0
	v_add_u32_e32 v17, s16, v17
	s_cbranch_scc1 .LBB46_10
.LBB46_14:                              ;   Parent Loop BB46_3 Depth=1
                                        ;     Parent Loop BB46_8 Depth=2
                                        ;       Parent Loop BB46_11 Depth=3
                                        ; =>      This Inner Loop Header: Depth=4
	v_cmp_gt_i32_e32 vcc, 0, v17
	v_cmp_le_i32_e64 s[0:1], s9, v17
	s_or_b64 s[0:1], vcc, s[0:1]
	s_nor_b64 s[70:71], s[20:21], s[0:1]
	s_and_saveexec_b64 s[0:1], s[70:71]
	s_cbranch_execz .LBB46_13
; %bb.15:                               ;   in Loop: Header=BB46_14 Depth=4
	v_add_co_u32_e32 v18, vcc, v6, v17
	v_addc_co_u32_e32 v19, vcc, 0, v7, vcc
	v_mul_lo_u32 v20, v19, s54
	v_mul_lo_u32 v21, v18, s57
	v_mad_u64_u32 v[18:19], s[70:71], v18, s54, 0
	v_add3_u32 v19, v19, v21, v20
	v_lshlrev_b64 v[18:19], 1, v[18:19]
	v_add_co_u32_e32 v18, vcc, v14, v18
	v_addc_co_u32_e32 v19, vcc, v15, v19, vcc
	global_load_ushort v20, v9, s[46:47]
	s_nop 0
	global_load_ushort v18, v[18:19], off
	s_waitcnt vmcnt(1)
	v_lshlrev_b32_e32 v20, 16, v20
	s_waitcnt vmcnt(0)
	v_lshlrev_b32_e32 v18, 16, v18
	v_cvt_f64_f32_e32 v[18:19], v18
	v_cvt_f64_f32_e32 v[20:21], v20
	v_fma_f64 v[3:4], v[18:19], v[20:21], v[3:4]
	s_branch .LBB46_13
.LBB46_16:                              ;   in Loop: Header=BB46_3 Depth=1
	v_ashrrev_i32_e32 v6, 31, v5
	v_mad_i64_i32 v[5:6], s[0:1], v12, s22, v[5:6]
	s_and_b64 vcc, exec, s[38:39]
	v_mul_lo_u32 v7, v5, s48
	v_mul_lo_u32 v6, v6, s49
	v_mad_u64_u32 v[1:2], s[0:1], v5, s49, v[1:2]
	s_mov_b64 s[0:1], -1
	v_add3_u32 v2, v6, v2, v7
	v_lshlrev_b64 v[1:2], 1, v[1:2]
	s_cbranch_vccz .LBB46_18
; %bb.17:                               ;   in Loop: Header=BB46_3 Depth=1
	v_mov_b32_e32 v6, s53
	v_add_co_u32_e32 v5, vcc, s52, v1
	v_addc_co_u32_e32 v6, vcc, v6, v2, vcc
	global_load_ushort v7, v[5:6], off
	s_waitcnt vmcnt(0)
	v_lshlrev_b32_e32 v7, 16, v7
	v_cvt_f64_f32_e32 v[12:13], v7
	v_mul_f64 v[12:13], s[30:31], v[12:13]
	v_fma_f64 v[12:13], s[28:29], v[3:4], v[12:13]
	v_cvt_f32_f64_e32 v7, v[12:13]
	v_and_b32_e32 v12, 0x7f800000, v7
	v_cmp_ne_u32_sdwa s[0:1], v7, v9 src0_sel:WORD_0 src1_sel:DWORD
	v_cmp_eq_u32_e32 vcc, s63, v12
	s_and_b64 s[0:1], vcc, s[0:1]
	v_cndmask_b32_e64 v12, 0, 1, s[0:1]
	v_or_b32_sdwa v7, v7, v12 dst_sel:DWORD dst_unused:UNUSED_PAD src0_sel:WORD_1 src1_sel:DWORD
	global_store_short v[5:6], v7, off
	s_mov_b64 s[0:1], 0
.LBB46_18:                              ;   in Loop: Header=BB46_3 Depth=1
	s_andn2_b64 vcc, exec, s[0:1]
	s_cbranch_vccnz .LBB46_2
; %bb.19:                               ;   in Loop: Header=BB46_3 Depth=1
	v_cvt_f32_f64_e32 v3, v[3:4]
	v_mov_b32_e32 v4, s53
	v_and_b32_e32 v5, 0x7f800000, v3
	v_cmp_ne_u32_sdwa s[0:1], v3, v9 src0_sel:WORD_0 src1_sel:DWORD
	v_cmp_eq_u32_e32 vcc, s63, v5
	s_and_b64 s[0:1], vcc, s[0:1]
	v_cndmask_b32_e64 v5, 0, 1, s[0:1]
	v_add_co_u32_e32 v1, vcc, s52, v1
	v_or_b32_sdwa v3, v3, v5 dst_sel:DWORD dst_unused:UNUSED_PAD src0_sel:WORD_1 src1_sel:DWORD
	v_addc_co_u32_e32 v2, vcc, v4, v2, vcc
	global_store_short v[1:2], v3, off
	s_branch .LBB46_2
.LBB46_20:
	s_endpgm
	.section	.rodata,"a",@progbits
	.p2align	6, 0x0
	.amdhsa_kernel naive_conv_ab_packed_wrw_nhwc_ushort_double_ushort
		.amdhsa_group_segment_fixed_size 0
		.amdhsa_private_segment_fixed_size 0
		.amdhsa_kernarg_size 480
		.amdhsa_user_sgpr_count 6
		.amdhsa_user_sgpr_private_segment_buffer 1
		.amdhsa_user_sgpr_dispatch_ptr 0
		.amdhsa_user_sgpr_queue_ptr 0
		.amdhsa_user_sgpr_kernarg_segment_ptr 1
		.amdhsa_user_sgpr_dispatch_id 0
		.amdhsa_user_sgpr_flat_scratch_init 0
		.amdhsa_user_sgpr_private_segment_size 0
		.amdhsa_uses_dynamic_stack 0
		.amdhsa_system_sgpr_private_segment_wavefront_offset 0
		.amdhsa_system_sgpr_workgroup_id_x 1
		.amdhsa_system_sgpr_workgroup_id_y 0
		.amdhsa_system_sgpr_workgroup_id_z 0
		.amdhsa_system_sgpr_workgroup_info 0
		.amdhsa_system_vgpr_workitem_id 0
		.amdhsa_next_free_vgpr 22
		.amdhsa_next_free_sgpr 72
		.amdhsa_reserve_vcc 1
		.amdhsa_reserve_flat_scratch 0
		.amdhsa_float_round_mode_32 0
		.amdhsa_float_round_mode_16_64 0
		.amdhsa_float_denorm_mode_32 3
		.amdhsa_float_denorm_mode_16_64 3
		.amdhsa_dx10_clamp 1
		.amdhsa_ieee_mode 1
		.amdhsa_fp16_overflow 0
		.amdhsa_exception_fp_ieee_invalid_op 0
		.amdhsa_exception_fp_denorm_src 0
		.amdhsa_exception_fp_ieee_div_zero 0
		.amdhsa_exception_fp_ieee_overflow 0
		.amdhsa_exception_fp_ieee_underflow 0
		.amdhsa_exception_fp_ieee_inexact 0
		.amdhsa_exception_int_div_zero 0
	.end_amdhsa_kernel
	.text
.Lfunc_end46:
	.size	naive_conv_ab_packed_wrw_nhwc_ushort_double_ushort, .Lfunc_end46-naive_conv_ab_packed_wrw_nhwc_ushort_double_ushort
                                        ; -- End function
	.set naive_conv_ab_packed_wrw_nhwc_ushort_double_ushort.num_vgpr, 22
	.set naive_conv_ab_packed_wrw_nhwc_ushort_double_ushort.num_agpr, 0
	.set naive_conv_ab_packed_wrw_nhwc_ushort_double_ushort.numbered_sgpr, 72
	.set naive_conv_ab_packed_wrw_nhwc_ushort_double_ushort.num_named_barrier, 0
	.set naive_conv_ab_packed_wrw_nhwc_ushort_double_ushort.private_seg_size, 0
	.set naive_conv_ab_packed_wrw_nhwc_ushort_double_ushort.uses_vcc, 1
	.set naive_conv_ab_packed_wrw_nhwc_ushort_double_ushort.uses_flat_scratch, 0
	.set naive_conv_ab_packed_wrw_nhwc_ushort_double_ushort.has_dyn_sized_stack, 0
	.set naive_conv_ab_packed_wrw_nhwc_ushort_double_ushort.has_recursion, 0
	.set naive_conv_ab_packed_wrw_nhwc_ushort_double_ushort.has_indirect_call, 0
	.section	.AMDGPU.csdata,"",@progbits
; Kernel info:
; codeLenInByte = 1576
; TotalNumSgprs: 76
; NumVgprs: 22
; ScratchSize: 0
; MemoryBound: 0
; FloatMode: 240
; IeeeMode: 1
; LDSByteSize: 0 bytes/workgroup (compile time only)
; SGPRBlocks: 9
; VGPRBlocks: 5
; NumSGPRsForWavesPerEU: 76
; NumVGPRsForWavesPerEU: 22
; Occupancy: 10
; WaveLimiterHint : 0
; COMPUTE_PGM_RSRC2:SCRATCH_EN: 0
; COMPUTE_PGM_RSRC2:USER_SGPR: 6
; COMPUTE_PGM_RSRC2:TRAP_HANDLER: 0
; COMPUTE_PGM_RSRC2:TGID_X_EN: 1
; COMPUTE_PGM_RSRC2:TGID_Y_EN: 0
; COMPUTE_PGM_RSRC2:TGID_Z_EN: 0
; COMPUTE_PGM_RSRC2:TIDIG_COMP_CNT: 0
	.text
	.protected	naive_conv_ab_nonpacked_wrw_nhwc_ushort_double_ushort ; -- Begin function naive_conv_ab_nonpacked_wrw_nhwc_ushort_double_ushort
	.globl	naive_conv_ab_nonpacked_wrw_nhwc_ushort_double_ushort
	.p2align	8
	.type	naive_conv_ab_nonpacked_wrw_nhwc_ushort_double_ushort,@function
naive_conv_ab_nonpacked_wrw_nhwc_ushort_double_ushort: ; @naive_conv_ab_nonpacked_wrw_nhwc_ushort_double_ushort
; %bb.0:
	s_load_dwordx8 s[24:31], s[4:5], 0xa0
	s_load_dwordx4 s[0:3], s[4:5], 0xd0
	s_waitcnt lgkmcnt(0)
	s_abs_i32 s7, s27
	v_cvt_f32_u32_e32 v1, s7
	s_mul_i32 s3, s2, s28
	s_mul_i32 s33, s3, s1
	v_cmp_gt_i32_e32 vcc, s33, v0
	v_rcp_iflag_f32_e32 v1, v1
	v_mul_f32_e32 v1, 0x4f7ffffe, v1
	v_cvt_u32_f32_e32 v1, v1
	v_readfirstlane_b32 s1, v1
	s_and_saveexec_b64 s[8:9], vcc
	s_cbranch_execz .LBB47_20
; %bb.1:
	s_sub_i32 s8, 0, s7
	s_mul_i32 s8, s8, s1
	s_mul_hi_u32 s8, s1, s8
	s_abs_i32 s54, s6
	s_add_i32 s1, s1, s8
	s_ashr_i32 s52, s6, 31
	s_ashr_i32 s53, s27, 31
	s_mul_hi_u32 s1, s54, s1
	s_xor_b32 s52, s52, s53
	s_mul_i32 s53, s1, s7
	s_sub_i32 s53, s54, s53
	s_add_i32 s54, s1, 1
	s_sub_i32 s55, s53, s7
	s_cmp_ge_u32 s53, s7
	s_cselect_b32 s1, s54, s1
	s_cselect_b32 s53, s55, s53
	s_add_i32 s54, s1, 1
	s_cmp_ge_u32 s53, s7
	s_load_dwordx8 s[36:43], s[4:5], 0x0
	s_load_dwordx2 s[34:35], s[4:5], 0x20
	s_load_dwordx16 s[8:23], s[4:5], 0x28
	s_load_dwordx8 s[44:51], s[4:5], 0x68
	s_cselect_b32 s1, s54, s1
	s_xor_b32 s1, s1, s52
	s_sub_i32 s1, s1, s52
	s_mul_i32 s7, s1, s27
	s_ashr_i32 s53, s1, 31
	s_sub_i32 s52, s6, s7
	s_waitcnt lgkmcnt(0)
	s_mul_i32 s6, s10, s53
	s_mul_hi_u32 s7, s10, s1
	s_add_i32 s6, s7, s6
	s_mul_i32 s7, s11, s1
	s_add_i32 s7, s6, s7
	s_mul_i32 s6, s10, s1
	s_lshl_b64 s[6:7], s[6:7], 1
	s_add_u32 s27, s36, s6
	s_addc_u32 s60, s37, s7
	s_mul_i32 s6, s46, s53
	s_mul_hi_u32 s7, s46, s1
	s_ashr_i32 s36, s52, 31
	s_add_i32 s6, s7, s6
	s_mul_i32 s7, s47, s1
	s_mul_i32 s10, s44, s36
	s_mul_hi_u32 s11, s44, s52
	s_add_i32 s7, s6, s7
	s_mul_i32 s6, s46, s1
	s_add_i32 s10, s11, s10
	s_mul_i32 s11, s45, s52
	s_add_i32 s11, s10, s11
	s_lshl_b64 s[6:7], s[6:7], 1
	s_mul_i32 s10, s44, s52
	s_add_u32 s37, s38, s6
	s_addc_u32 s38, s39, s7
	s_lshl_b64 s[6:7], s[10:11], 1
	s_add_u32 s61, s37, s6
	s_addc_u32 s62, s38, s7
	s_mul_i32 s6, s50, s53
	s_mul_hi_u32 s7, s50, s1
	s_add_i32 s6, s7, s6
	s_mul_i32 s7, s51, s1
	s_add_i32 s7, s6, s7
	s_mul_i32 s6, s50, s1
	s_mul_i32 s1, s48, s36
	s_mul_hi_u32 s10, s48, s52
	s_add_i32 s1, s10, s1
	s_mul_i32 s10, s49, s52
	s_add_i32 s11, s1, s10
	s_lshl_b64 s[6:7], s[6:7], 1
	s_mul_i32 s10, s48, s52
	s_add_u32 s1, s34, s6
	s_addc_u32 s34, s35, s7
	s_lshl_b64 s[6:7], s[10:11], 1
	s_add_u32 s6, s1, s6
	s_addc_u32 s7, s34, s7
	s_cmp_lt_i32 s26, 1
	s_cselect_b64 s[10:11], -1, 0
	s_cmp_gt_i32 s29, 0
	s_cselect_b64 s[34:35], -1, 0
	s_cmp_gt_i32 s30, 0
	s_cselect_b64 s[44:45], -1, 0
	s_abs_i32 s63, s28
	v_cvt_f32_u32_e32 v1, s63
	s_abs_i32 s64, s2
	v_cvt_f32_u32_e32 v2, s64
	s_abs_i32 s66, s3
	v_rcp_iflag_f32_e32 v1, v1
	v_cvt_f32_u32_e32 v3, s66
	v_rcp_iflag_f32_e32 v2, v2
	s_sub_i32 s2, 0, s63
	v_mul_f32_e32 v1, 0x4f7ffffe, v1
	v_rcp_iflag_f32_e32 v3, v3
	v_cvt_u32_f32_e32 v1, v1
	v_mul_f32_e32 v2, 0x4f7ffffe, v2
	v_cvt_u32_f32_e32 v2, v2
	v_mul_f32_e32 v3, 0x4f7ffffe, v3
	v_cmp_neq_f64_e64 s[46:47], s[40:41], 1.0
	v_cmp_neq_f64_e64 s[48:49], s[42:43], 0
	v_mul_lo_u32 v4, s2, v1
	v_cvt_u32_f32_e32 v3, v3
	s_sub_i32 s2, 0, s64
	s_load_dwordx4 s[36:39], s[4:5], 0x88
	v_mul_lo_u32 v5, s2, v2
	s_sub_i32 s2, 0, s66
	v_mul_lo_u32 v6, s2, v3
	v_mul_hi_u32 v4, v1, v4
	s_sub_i32 s65, 0, s0
	s_load_dwordx2 s[0:1], s[4:5], 0x98
	s_load_dword s2, s[4:5], 0xec
	s_or_b64 s[46:47], s[46:47], s[48:49]
	s_waitcnt lgkmcnt(0)
	s_lshl_b64 s[48:49], s[38:39], 1
	s_lshl_b64 s[50:51], s[36:37], 1
	s_load_dwordx4 s[36:39], s[4:5], 0xc0
	v_mul_hi_u32 v7, v2, v5
	v_add_u32_e32 v5, v1, v4
	v_mul_hi_u32 v1, v3, v6
	s_and_b32 s67, s2, 0xffff
	v_mov_b32_e32 v6, 0
	v_add_u32_e32 v7, v2, v7
	s_ashr_i32 s68, s3, 31
	v_add_u32_e32 v8, v3, v1
	s_lshl_b64 s[52:53], s[0:1], 1
	s_ashr_i32 s69, s28, 31
	s_mov_b32 s70, 0x7f800000
	s_mov_b64 s[54:55], 0
	s_branch .LBB47_3
.LBB47_2:                               ;   in Loop: Header=BB47_3 Depth=1
	v_add_u32_e32 v0, s67, v0
	v_cmp_le_i32_e32 vcc, s33, v0
	s_or_b64 s[54:55], vcc, s[54:55]
	s_andn2_b64 exec, exec, s[54:55]
	s_cbranch_execz .LBB47_20
.LBB47_3:                               ; =>This Loop Header: Depth=1
                                        ;     Child Loop BB47_8 Depth 2
                                        ;       Child Loop BB47_11 Depth 3
                                        ;         Child Loop BB47_14 Depth 4
	v_sub_u32_e32 v1, 0, v0
	v_max_i32_e32 v4, v0, v1
	v_mul_hi_u32 v2, v4, v5
	v_ashrrev_i32_e32 v1, 31, v0
	v_xor_b32_e32 v9, s69, v1
	s_mov_b64 s[56:57], -1
	v_mul_lo_u32 v3, v2, s63
	v_add_u32_e32 v10, 1, v2
	v_sub_u32_e32 v3, v4, v3
	v_cmp_le_u32_e32 vcc, s63, v3
	v_cndmask_b32_e32 v2, v2, v10, vcc
	v_subrev_u32_e32 v10, s63, v3
	v_cndmask_b32_e32 v3, v3, v10, vcc
	v_add_u32_e32 v10, 1, v2
	v_cmp_le_u32_e32 vcc, s63, v3
	v_cndmask_b32_e32 v2, v2, v10, vcc
	v_xor_b32_e32 v2, v2, v9
	v_sub_u32_e32 v2, v2, v9
	v_sub_u32_e32 v3, 0, v2
	v_max_i32_e32 v9, v2, v3
	v_mul_hi_u32 v3, v9, v7
	v_mul_hi_u32 v10, v4, v8
	v_mul_lo_u32 v11, v2, s28
	v_mul_lo_u32 v12, v3, s64
	v_mul_lo_u32 v13, v10, s66
	v_sub_u32_e32 v3, v0, v11
	v_sub_u32_e32 v9, v9, v12
	v_subrev_u32_e32 v11, s64, v9
	v_cmp_le_u32_e32 vcc, s64, v9
	v_sub_u32_e32 v4, v4, v13
	v_cndmask_b32_e32 v9, v9, v11, vcc
	v_subrev_u32_e32 v11, s66, v4
	v_cmp_le_u32_e64 s[0:1], s66, v4
	v_cndmask_b32_e64 v4, v4, v11, s[0:1]
	v_cmp_le_u32_e64 s[4:5], s64, v9
	v_cmp_le_u32_e64 s[2:3], s66, v4
	s_andn2_b64 vcc, exec, s[10:11]
	v_ashrrev_i32_e32 v4, 31, v3
	s_cbranch_vccnz .LBB47_5
; %bb.4:                                ;   in Loop: Header=BB47_3 Depth=1
	s_mov_b64 s[56:57], 0
.LBB47_5:                               ;   in Loop: Header=BB47_3 Depth=1
	v_subrev_u32_e32 v11, s64, v9
	v_ashrrev_i32_e32 v2, 31, v2
	v_cndmask_b32_e64 v9, v9, v11, s[4:5]
	v_xor_b32_e32 v11, s68, v1
	v_add_u32_e32 v1, 1, v10
	v_xor_b32_e32 v9, v9, v2
	v_cndmask_b32_e64 v1, v10, v1, s[0:1]
	v_sub_u32_e32 v9, v9, v2
	v_add_u32_e32 v2, 1, v1
	v_cndmask_b32_e64 v1, v1, v2, s[2:3]
	v_xor_b32_e32 v10, v1, v11
	v_mov_b32_e32 v1, 0
	v_mov_b32_e32 v2, 0
	s_andn2_b64 vcc, exec, s[56:57]
	v_sub_u32_e32 v10, v10, v11
	s_cbranch_vccnz .LBB47_16
; %bb.6:                                ;   in Loop: Header=BB47_3 Depth=1
	v_mul_lo_u32 v12, s9, v3
	v_mul_lo_u32 v13, s8, v4
	v_mad_u64_u32 v[1:2], s[0:1], s8, v3, 0
	s_waitcnt lgkmcnt(0)
	v_mul_lo_u32 v14, v9, s38
	v_mul_lo_u32 v11, v10, s37
	v_add3_u32 v2, v2, v13, v12
	v_lshlrev_b64 v[1:2], 1, v[1:2]
	v_mov_b32_e32 v13, s60
	v_add_co_u32_e32 v12, vcc, s27, v1
	v_addc_co_u32_e32 v13, vcc, v13, v2, vcc
	v_mov_b32_e32 v1, 0
	v_add_u32_e32 v14, s65, v14
	v_mov_b32_e32 v2, 0
	s_mov_b32 s71, 0
	s_mov_b64 s[2:3], s[6:7]
	s_branch .LBB47_8
.LBB47_7:                               ;   in Loop: Header=BB47_8 Depth=2
	s_add_i32 s71, s71, 1
	s_add_u32 s2, s2, s52
	s_addc_u32 s3, s3, s53
	s_cmp_eq_u32 s71, s26
	s_cbranch_scc1 .LBB47_16
.LBB47_8:                               ;   Parent Loop BB47_3 Depth=1
                                        ; =>  This Loop Header: Depth=2
                                        ;       Child Loop BB47_11 Depth 3
                                        ;         Child Loop BB47_14 Depth 4
	s_andn2_b64 vcc, exec, s[34:35]
	s_cbranch_vccnz .LBB47_7
; %bb.9:                                ;   in Loop: Header=BB47_8 Depth=2
	s_mul_i32 s0, s17, s71
	s_mul_hi_u32 s1, s16, s71
	s_add_i32 s1, s1, s0
	s_mul_i32 s0, s16, s71
	s_lshl_b64 s[0:1], s[0:1], 1
	v_mov_b32_e32 v16, s1
	v_add_co_u32_e32 v15, vcc, s0, v12
	v_addc_co_u32_e32 v16, vcc, v13, v16, vcc
	s_mov_b32 s72, 0
	s_mov_b64 s[4:5], s[2:3]
	s_branch .LBB47_11
.LBB47_10:                              ;   in Loop: Header=BB47_11 Depth=3
	s_add_i32 s72, s72, 1
	s_add_u32 s4, s4, s48
	s_addc_u32 s5, s5, s49
	s_cmp_eq_u32 s72, s29
	s_cbranch_scc1 .LBB47_7
.LBB47_11:                              ;   Parent Loop BB47_3 Depth=1
                                        ;     Parent Loop BB47_8 Depth=2
                                        ; =>    This Loop Header: Depth=3
                                        ;         Child Loop BB47_14 Depth 4
	s_andn2_b64 vcc, exec, s[44:45]
	s_cbranch_vccnz .LBB47_10
; %bb.12:                               ;   in Loop: Header=BB47_11 Depth=3
	s_mul_i32 s0, s72, s31
	s_sub_i32 s0, s0, s39
	v_add_u32_e32 v20, s0, v11
	v_mad_u64_u32 v[17:18], s[0:1], s14, v20, 0
	v_cmp_gt_i32_e32 vcc, 0, v20
	s_mov_b64 s[58:59], s[4:5]
	v_mad_u64_u32 v[18:19], s[0:1], s15, v20, v[18:19]
	v_cmp_le_i32_e64 s[0:1], s24, v20
	s_or_b64 s[56:57], vcc, s[0:1]
	v_lshlrev_b64 v[17:18], 1, v[17:18]
	v_mov_b32_e32 v19, v14
	v_add_co_u32_e32 v17, vcc, v15, v17
	v_addc_co_u32_e32 v18, vcc, v16, v18, vcc
	s_mov_b32 s73, s30
	s_branch .LBB47_14
.LBB47_13:                              ;   in Loop: Header=BB47_14 Depth=4
	s_or_b64 exec, exec, s[0:1]
	s_add_i32 s73, s73, -1
	s_add_u32 s58, s58, s50
	s_addc_u32 s59, s59, s51
	s_cmp_eq_u32 s73, 0
	v_add_u32_e32 v19, s36, v19
	s_cbranch_scc1 .LBB47_10
.LBB47_14:                              ;   Parent Loop BB47_3 Depth=1
                                        ;     Parent Loop BB47_8 Depth=2
                                        ;       Parent Loop BB47_11 Depth=3
                                        ; =>      This Inner Loop Header: Depth=4
	v_cmp_gt_i32_e32 vcc, 0, v19
	v_cmp_le_i32_e64 s[0:1], s25, v19
	s_or_b64 s[0:1], vcc, s[0:1]
	s_nor_b64 s[74:75], s[56:57], s[0:1]
	s_and_saveexec_b64 s[0:1], s[74:75]
	s_cbranch_execz .LBB47_13
; %bb.15:                               ;   in Loop: Header=BB47_14 Depth=4
	v_mad_u64_u32 v[20:21], s[74:75], s12, v19, 0
	v_mad_u64_u32 v[21:22], s[74:75], s13, v19, v[21:22]
	global_load_ushort v22, v6, s[58:59]
	v_lshlrev_b64 v[20:21], 1, v[20:21]
	v_add_co_u32_e32 v20, vcc, v17, v20
	v_addc_co_u32_e32 v21, vcc, v18, v21, vcc
	global_load_ushort v20, v[20:21], off
	s_waitcnt vmcnt(1)
	v_lshlrev_b32_e32 v22, 16, v22
	v_cvt_f64_f32_e32 v[22:23], v22
	s_waitcnt vmcnt(0)
	v_lshlrev_b32_e32 v20, 16, v20
	v_cvt_f64_f32_e32 v[20:21], v20
	v_fma_f64 v[1:2], v[20:21], v[22:23], v[1:2]
	s_branch .LBB47_13
.LBB47_16:                              ;   in Loop: Header=BB47_3 Depth=1
	v_ashrrev_i32_e32 v11, 31, v9
	v_mul_lo_u32 v13, s21, v9
	v_mul_lo_u32 v14, s20, v11
	v_mad_u64_u32 v[11:12], s[0:1], s20, v9, 0
	v_ashrrev_i32_e32 v9, 31, v10
	v_mul_lo_u32 v9, s22, v9
	v_add3_u32 v12, v12, v14, v13
	v_mad_u64_u32 v[11:12], s[0:1], s22, v10, v[11:12]
	v_mul_lo_u32 v10, s23, v10
	v_mul_lo_u32 v4, v4, s18
	s_and_b64 vcc, exec, s[46:47]
	v_add3_u32 v12, v10, v12, v9
	v_mad_u64_u32 v[9:10], s[0:1], v3, s18, v[11:12]
	v_mul_lo_u32 v3, v3, s19
	s_mov_b64 s[0:1], -1
	v_add3_u32 v10, v4, v10, v3
	v_lshlrev_b64 v[3:4], 1, v[9:10]
	s_cbranch_vccz .LBB47_18
; %bb.17:                               ;   in Loop: Header=BB47_3 Depth=1
	v_mov_b32_e32 v10, s62
	v_add_co_u32_e32 v9, vcc, s61, v3
	v_addc_co_u32_e32 v10, vcc, v10, v4, vcc
	global_load_ushort v11, v[9:10], off
	s_waitcnt vmcnt(0)
	v_lshlrev_b32_e32 v11, 16, v11
	v_cvt_f64_f32_e32 v[11:12], v11
	v_mul_f64 v[11:12], s[42:43], v[11:12]
	v_fma_f64 v[11:12], s[40:41], v[1:2], v[11:12]
	v_cvt_f32_f64_e32 v11, v[11:12]
	v_and_b32_e32 v12, 0x7f800000, v11
	v_cmp_ne_u32_sdwa s[0:1], v11, v6 src0_sel:WORD_0 src1_sel:DWORD
	v_cmp_eq_u32_e32 vcc, s70, v12
	s_and_b64 s[0:1], vcc, s[0:1]
	v_cndmask_b32_e64 v12, 0, 1, s[0:1]
	v_or_b32_sdwa v11, v11, v12 dst_sel:DWORD dst_unused:UNUSED_PAD src0_sel:WORD_1 src1_sel:DWORD
	global_store_short v[9:10], v11, off
	s_mov_b64 s[0:1], 0
.LBB47_18:                              ;   in Loop: Header=BB47_3 Depth=1
	s_andn2_b64 vcc, exec, s[0:1]
	s_cbranch_vccnz .LBB47_2
; %bb.19:                               ;   in Loop: Header=BB47_3 Depth=1
	v_cvt_f32_f64_e32 v1, v[1:2]
	v_mov_b32_e32 v2, s62
	v_and_b32_e32 v9, 0x7f800000, v1
	v_cmp_ne_u32_sdwa s[0:1], v1, v6 src0_sel:WORD_0 src1_sel:DWORD
	v_cmp_eq_u32_e32 vcc, s70, v9
	s_and_b64 s[0:1], vcc, s[0:1]
	v_cndmask_b32_e64 v9, 0, 1, s[0:1]
	v_or_b32_sdwa v9, v1, v9 dst_sel:DWORD dst_unused:UNUSED_PAD src0_sel:WORD_1 src1_sel:DWORD
	v_add_co_u32_e32 v1, vcc, s61, v3
	v_addc_co_u32_e32 v2, vcc, v2, v4, vcc
	global_store_short v[1:2], v9, off
	s_branch .LBB47_2
.LBB47_20:
	s_endpgm
	.section	.rodata,"a",@progbits
	.p2align	6, 0x0
	.amdhsa_kernel naive_conv_ab_nonpacked_wrw_nhwc_ushort_double_ushort
		.amdhsa_group_segment_fixed_size 0
		.amdhsa_private_segment_fixed_size 0
		.amdhsa_kernarg_size 480
		.amdhsa_user_sgpr_count 6
		.amdhsa_user_sgpr_private_segment_buffer 1
		.amdhsa_user_sgpr_dispatch_ptr 0
		.amdhsa_user_sgpr_queue_ptr 0
		.amdhsa_user_sgpr_kernarg_segment_ptr 1
		.amdhsa_user_sgpr_dispatch_id 0
		.amdhsa_user_sgpr_flat_scratch_init 0
		.amdhsa_user_sgpr_private_segment_size 0
		.amdhsa_uses_dynamic_stack 0
		.amdhsa_system_sgpr_private_segment_wavefront_offset 0
		.amdhsa_system_sgpr_workgroup_id_x 1
		.amdhsa_system_sgpr_workgroup_id_y 0
		.amdhsa_system_sgpr_workgroup_id_z 0
		.amdhsa_system_sgpr_workgroup_info 0
		.amdhsa_system_vgpr_workitem_id 0
		.amdhsa_next_free_vgpr 24
		.amdhsa_next_free_sgpr 76
		.amdhsa_reserve_vcc 1
		.amdhsa_reserve_flat_scratch 0
		.amdhsa_float_round_mode_32 0
		.amdhsa_float_round_mode_16_64 0
		.amdhsa_float_denorm_mode_32 3
		.amdhsa_float_denorm_mode_16_64 3
		.amdhsa_dx10_clamp 1
		.amdhsa_ieee_mode 1
		.amdhsa_fp16_overflow 0
		.amdhsa_exception_fp_ieee_invalid_op 0
		.amdhsa_exception_fp_denorm_src 0
		.amdhsa_exception_fp_ieee_div_zero 0
		.amdhsa_exception_fp_ieee_overflow 0
		.amdhsa_exception_fp_ieee_underflow 0
		.amdhsa_exception_fp_ieee_inexact 0
		.amdhsa_exception_int_div_zero 0
	.end_amdhsa_kernel
	.text
.Lfunc_end47:
	.size	naive_conv_ab_nonpacked_wrw_nhwc_ushort_double_ushort, .Lfunc_end47-naive_conv_ab_nonpacked_wrw_nhwc_ushort_double_ushort
                                        ; -- End function
	.set naive_conv_ab_nonpacked_wrw_nhwc_ushort_double_ushort.num_vgpr, 24
	.set naive_conv_ab_nonpacked_wrw_nhwc_ushort_double_ushort.num_agpr, 0
	.set naive_conv_ab_nonpacked_wrw_nhwc_ushort_double_ushort.numbered_sgpr, 76
	.set naive_conv_ab_nonpacked_wrw_nhwc_ushort_double_ushort.num_named_barrier, 0
	.set naive_conv_ab_nonpacked_wrw_nhwc_ushort_double_ushort.private_seg_size, 0
	.set naive_conv_ab_nonpacked_wrw_nhwc_ushort_double_ushort.uses_vcc, 1
	.set naive_conv_ab_nonpacked_wrw_nhwc_ushort_double_ushort.uses_flat_scratch, 0
	.set naive_conv_ab_nonpacked_wrw_nhwc_ushort_double_ushort.has_dyn_sized_stack, 0
	.set naive_conv_ab_nonpacked_wrw_nhwc_ushort_double_ushort.has_recursion, 0
	.set naive_conv_ab_nonpacked_wrw_nhwc_ushort_double_ushort.has_indirect_call, 0
	.section	.AMDGPU.csdata,"",@progbits
; Kernel info:
; codeLenInByte = 1680
; TotalNumSgprs: 80
; NumVgprs: 24
; ScratchSize: 0
; MemoryBound: 0
; FloatMode: 240
; IeeeMode: 1
; LDSByteSize: 0 bytes/workgroup (compile time only)
; SGPRBlocks: 9
; VGPRBlocks: 5
; NumSGPRsForWavesPerEU: 80
; NumVGPRsForWavesPerEU: 24
; Occupancy: 10
; WaveLimiterHint : 0
; COMPUTE_PGM_RSRC2:SCRATCH_EN: 0
; COMPUTE_PGM_RSRC2:USER_SGPR: 6
; COMPUTE_PGM_RSRC2:TRAP_HANDLER: 0
; COMPUTE_PGM_RSRC2:TGID_X_EN: 1
; COMPUTE_PGM_RSRC2:TGID_Y_EN: 0
; COMPUTE_PGM_RSRC2:TGID_Z_EN: 0
; COMPUTE_PGM_RSRC2:TIDIG_COMP_CNT: 0
	.text
	.protected	naive_conv_ab_packed_fwd_ncdhw_float_double_float ; -- Begin function naive_conv_ab_packed_fwd_ncdhw_float_double_float
	.globl	naive_conv_ab_packed_fwd_ncdhw_float_double_float
	.p2align	8
	.type	naive_conv_ab_packed_fwd_ncdhw_float_double_float,@function
naive_conv_ab_packed_fwd_ncdhw_float_double_float: ; @naive_conv_ab_packed_fwd_ncdhw_float_double_float
; %bb.0:
	s_load_dwordx16 s[8:23], s[4:5], 0xb8
	s_abs_i32 s7, s6
	s_waitcnt lgkmcnt(0)
	s_abs_i32 s1, s12
	v_cvt_f32_u32_e32 v1, s1
	s_sub_i32 s2, 0, s1
	s_mul_i32 s0, s12, s11
	s_mul_i32 s42, s16, s15
	v_rcp_iflag_f32_e32 v1, v1
	v_mul_f32_e32 v1, 0x4f7ffffe, v1
	v_cvt_u32_f32_e32 v1, v1
	v_readfirstlane_b32 s3, v1
	s_mul_i32 s2, s2, s3
	s_mul_hi_u32 s2, s3, s2
	s_add_i32 s3, s3, s2
	s_mul_hi_u32 s2, s7, s3
	s_mul_i32 s3, s2, s1
	s_sub_i32 s3, s7, s3
	s_add_i32 s24, s2, 1
	s_sub_i32 s25, s3, s1
	s_cmp_ge_u32 s3, s1
	s_cselect_b32 s2, s24, s2
	s_cselect_b32 s3, s25, s3
	s_add_i32 s24, s2, 1
	s_cmp_ge_u32 s3, s1
	s_cselect_b32 s1, s24, s2
	s_abs_i32 s34, s11
	s_abs_i32 s33, s0
	v_cvt_f32_u32_e32 v1, s34
	v_cvt_f32_u32_e32 v2, s33
	s_mul_i32 s11, s42, s14
	v_cmp_gt_i32_e32 vcc, s11, v0
	v_rcp_iflag_f32_e32 v1, v1
	v_rcp_iflag_f32_e32 v2, v2
	v_mul_f32_e32 v1, 0x4f7ffffe, v1
	v_mul_f32_e32 v2, 0x4f7ffffe, v2
	v_cvt_u32_f32_e32 v1, v1
	v_cvt_u32_f32_e32 v2, v2
	v_readfirstlane_b32 s3, v1
	v_readfirstlane_b32 s2, v2
	s_and_saveexec_b64 s[24:25], vcc
	s_cbranch_execz .LBB48_20
; %bb.1:
	s_ashr_i32 s35, s6, 31
	s_ashr_i32 s36, s12, 31
	s_xor_b32 s36, s35, s36
	s_xor_b32 s1, s1, s36
	s_sub_i32 s40, s1, s36
	s_sub_i32 s1, 0, s34
	s_mul_i32 s1, s1, s3
	s_mul_hi_u32 s1, s3, s1
	s_ashr_i32 s45, s0, 31
	s_sub_i32 s0, 0, s33
	s_abs_i32 s43, s40
	s_add_i32 s3, s3, s1
	s_mul_i32 s0, s0, s2
	s_mul_hi_u32 s44, s43, s3
	s_mul_hi_u32 s0, s2, s0
	s_add_i32 s0, s2, s0
	s_mul_i32 s44, s44, s34
	s_load_dwordx8 s[24:31], s[4:5], 0x0
	s_ashr_i32 s41, s40, 31
	s_load_dwordx2 s[2:3], s[4:5], 0x108
	s_mul_hi_u32 s46, s7, s0
	s_load_dwordx2 s[0:1], s[4:5], 0x20
	s_load_dwordx4 s[36:39], s[4:5], 0xf8
	s_load_dword s47, s[4:5], 0x11c
	s_mul_i32 s40, s40, s12
	s_sub_i32 s4, s43, s44
	s_sub_i32 s6, s6, s40
	;; [unrolled: 1-line block ×3, first 2 shown]
	s_cmp_ge_u32 s4, s34
	s_cselect_b32 s4, s5, s4
	s_sub_i32 s5, s4, s34
	s_cmp_ge_u32 s4, s34
	s_cselect_b32 s4, s5, s4
	s_mul_i32 s5, s46, s33
	s_xor_b32 s4, s4, s41
	s_sub_i32 s5, s7, s5
	s_sub_i32 s34, s4, s41
	s_xor_b32 s4, s35, s45
	s_add_i32 s7, s46, 1
	s_sub_i32 s35, s5, s33
	s_cmp_ge_u32 s5, s33
	s_cselect_b32 s7, s7, s46
	s_cselect_b32 s5, s35, s5
	s_add_i32 s35, s7, 1
	s_cmp_ge_u32 s5, s33
	s_cselect_b32 s5, s35, s7
	s_xor_b32 s5, s5, s4
	s_waitcnt lgkmcnt(0)
	s_mul_i32 s48, s3, s12
	s_mul_i32 s3, s3, s13
	s_sub_i32 s7, s5, s4
	s_mul_hi_i32 s4, s34, s3
	s_mul_i32 s3, s34, s3
	s_ashr_i32 s33, s8, 31
	s_ashr_i32 s56, s9, 31
	;; [unrolled: 1-line block ×4, first 2 shown]
	s_mul_i32 s35, s7, s13
	s_mul_hi_i32 s5, s7, s13
	s_add_u32 s3, s35, s3
	s_mul_i32 s35, s9, s8
	s_addc_u32 s4, s5, s4
	s_mul_hi_i32 s5, s9, s8
	s_mul_i32 s40, s35, s57
	s_mul_hi_u32 s41, s35, s10
	s_add_i32 s40, s41, s40
	s_mul_i32 s5, s5, s10
	s_mul_i32 s35, s35, s10
	s_add_i32 s5, s40, s5
	s_mul_i32 s4, s35, s4
	s_mul_hi_u32 s40, s35, s3
	s_add_i32 s4, s40, s4
	s_mul_i32 s5, s5, s3
	s_add_i32 s5, s4, s5
	s_mul_i32 s4, s35, s3
	s_lshl_b64 s[4:5], s[4:5], 2
	s_add_u32 s58, s24, s4
	s_addc_u32 s59, s25, s5
	s_mul_hi_i32 s4, s7, s12
	s_mul_i32 s7, s7, s12
	s_ashr_i32 s12, s38, 31
	s_ashr_i32 s3, s2, 31
	;; [unrolled: 1-line block ×3, first 2 shown]
	s_add_u32 s46, s7, s6
	s_addc_u32 s49, s4, s5
	s_mul_hi_i32 s4, s34, s48
	s_mul_i32 s34, s34, s48
	s_ashr_i32 s60, s16, 31
	s_mul_i32 s7, s15, s14
	s_add_u32 s6, s46, s34
	s_mul_hi_i32 s5, s15, s14
	s_mul_i32 s14, s7, s60
	s_mul_hi_u32 s24, s7, s16
	s_addc_u32 s4, s49, s4
	s_add_i32 s14, s24, s14
	s_mul_i32 s5, s5, s16
	s_mul_i32 s7, s7, s16
	s_add_i32 s5, s14, s5
	s_mul_i32 s4, s7, s4
	s_mul_hi_u32 s14, s7, s6
	s_add_i32 s4, s14, s4
	s_mul_i32 s5, s5, s6
	s_add_i32 s5, s4, s5
	s_mul_i32 s4, s7, s6
	s_lshl_b64 s[4:5], s[4:5], 2
	s_add_u32 s61, s0, s4
	s_addc_u32 s62, s1, s5
	s_cmp_gt_i32 s13, 0
	v_cmp_neq_f64_e64 s[0:1], s[28:29], 1.0
	v_cmp_neq_f64_e64 s[40:41], s[30:31], 0
	s_cselect_b64 s[4:5], -1, 0
	s_cmp_gt_i32 s38, 0
	s_cselect_b64 s[6:7], -1, 0
	s_cmp_gt_i32 s39, 0
	;; [unrolled: 2-line block ×3, first 2 shown]
	s_cselect_b64 s[34:35], -1, 0
	s_abs_i32 s65, s15
	s_abs_i32 s64, s16
	;; [unrolled: 1-line block ×3, first 2 shown]
	v_cvt_f32_u32_e32 v2, s65
	v_cvt_f32_u32_e32 v1, s64
	;; [unrolled: 1-line block ×3, first 2 shown]
	s_or_b64 s[40:41], s[0:1], s[40:41]
	s_mul_i32 s0, s2, s39
	v_rcp_iflag_f32_e32 v2, v2
	s_mul_hi_i32 s1, s2, s39
	s_mul_i32 s12, s0, s12
	s_mul_hi_u32 s44, s0, s38
	v_rcp_iflag_f32_e32 v1, v1
	v_rcp_iflag_f32_e32 v3, v3
	s_add_i32 s12, s44, s12
	s_mul_i32 s44, s1, s38
	s_add_i32 s45, s12, s44
	s_mul_i32 s44, s0, s38
	s_and_b32 s63, s47, 0xffff
	s_mul_i32 s12, s44, s49
	s_mul_hi_u32 s47, s44, s46
	v_mul_f32_e32 v2, 0x4f7ffffe, v2
	s_add_i32 s12, s47, s12
	s_mul_i32 s47, s45, s46
	s_mul_i32 s46, s44, s46
	v_mul_f32_e32 v1, 0x4f7ffffe, v1
	v_cvt_u32_f32_e32 v5, v2
	v_mul_f32_e32 v2, 0x4f7ffffe, v3
	s_add_i32 s12, s12, s47
	s_mul_i32 s43, s46, s43
	s_mul_hi_u32 s47, s46, s13
	v_cvt_u32_f32_e32 v1, v1
	v_cvt_u32_f32_e32 v3, v2
	s_add_i32 s43, s47, s43
	s_mul_i32 s12, s12, s13
	s_add_i32 s47, s43, s12
	s_mul_i32 s46, s46, s13
	s_sub_i32 s14, 0, s64
	s_ashr_i32 s66, s42, 31
	s_lshl_b64 s[42:43], s[46:47], 2
	s_sub_i32 s12, 0, s65
	s_sub_i32 s46, 0, s67
	v_mul_lo_u32 v4, s14, v1
	v_mul_lo_u32 v2, s12, v5
	;; [unrolled: 1-line block ×3, first 2 shown]
	s_add_u32 s26, s26, s42
	v_mul_hi_u32 v4, v1, v4
	v_mul_hi_u32 v7, v5, v2
	;; [unrolled: 1-line block ×3, first 2 shown]
	s_addc_u32 s27, s27, s43
	s_mov_b32 s68, s8
	s_mov_b32 s69, s9
	;; [unrolled: 1-line block ×4, first 2 shown]
	v_add_u32_e32 v10, v1, v4
	v_mov_b32_e32 v2, 0
	v_add_u32_e32 v11, v5, v7
	v_add_u32_e32 v12, v3, v6
	s_lshl_b64 s[8:9], s[44:45], 2
	s_lshl_b64 s[12:13], s[0:1], 2
	s_mov_b64 s[14:15], 0
	s_lshl_b64 s[42:43], s[2:3], 2
	s_branch .LBB48_3
.LBB48_2:                               ;   in Loop: Header=BB48_3 Depth=1
	v_cvt_f32_f64_e32 v1, v[5:6]
	v_add_u32_e32 v0, s63, v0
	v_cmp_le_i32_e32 vcc, s11, v0
	s_or_b64 s[14:15], vcc, s[14:15]
	global_store_dword v[3:4], v1, off
	s_andn2_b64 exec, exec, s[14:15]
	s_cbranch_execz .LBB48_20
.LBB48_3:                               ; =>This Loop Header: Depth=1
                                        ;     Child Loop BB48_6 Depth 2
                                        ;       Child Loop BB48_9 Depth 3
                                        ;         Child Loop BB48_12 Depth 4
                                        ;           Child Loop BB48_15 Depth 5
	v_sub_u32_e32 v1, 0, v0
	v_max_i32_e32 v1, v0, v1
	v_mul_hi_u32 v3, v1, v10
	v_ashrrev_i32_e32 v5, 31, v0
	v_xor_b32_e32 v6, s60, v5
	v_mul_hi_u32 v8, v1, v12
	v_mul_lo_u32 v4, v3, s64
	v_add_u32_e32 v7, 1, v3
	v_sub_u32_e32 v4, v1, v4
	v_cmp_le_u32_e32 vcc, s64, v4
	v_cndmask_b32_e32 v3, v3, v7, vcc
	v_subrev_u32_e32 v7, s64, v4
	v_cndmask_b32_e32 v4, v4, v7, vcc
	v_add_u32_e32 v7, 1, v3
	v_cmp_le_u32_e32 vcc, s64, v4
	v_cndmask_b32_e32 v3, v3, v7, vcc
	v_xor_b32_e32 v3, v3, v6
	v_sub_u32_e32 v3, v3, v6
	v_sub_u32_e32 v4, 0, v3
	v_max_i32_e32 v4, v3, v4
	v_mul_hi_u32 v6, v4, v11
	v_mul_lo_u32 v7, v3, s16
	v_ashrrev_i32_e32 v9, 31, v3
	v_mul_lo_u32 v6, v6, s65
	v_sub_u32_e32 v3, v0, v7
	v_sub_u32_e32 v4, v4, v6
	v_subrev_u32_e32 v6, s65, v4
	v_cmp_le_u32_e32 vcc, s65, v4
	v_cndmask_b32_e32 v4, v4, v6, vcc
	v_subrev_u32_e32 v6, s65, v4
	v_cmp_le_u32_e32 vcc, s65, v4
	v_cndmask_b32_e32 v4, v4, v6, vcc
	v_mul_lo_u32 v6, v8, s67
	v_xor_b32_e32 v4, v4, v9
	v_sub_u32_e32 v7, v4, v9
	v_xor_b32_e32 v4, s66, v5
	v_sub_u32_e32 v1, v1, v6
	v_add_u32_e32 v5, 1, v8
	v_cmp_le_u32_e32 vcc, s67, v1
	v_subrev_u32_e32 v6, s67, v1
	v_cndmask_b32_e32 v5, v8, v5, vcc
	v_cndmask_b32_e32 v1, v1, v6, vcc
	v_add_u32_e32 v6, 1, v5
	v_cmp_le_u32_e32 vcc, s67, v1
	v_cndmask_b32_e32 v1, v5, v6, vcc
	v_xor_b32_e32 v1, v1, v4
	s_andn2_b64 vcc, exec, s[4:5]
	v_sub_u32_e32 v4, v1, v4
	s_cbranch_vccnz .LBB48_17
; %bb.4:                                ;   in Loop: Header=BB48_3 Depth=1
	v_mul_lo_u32 v5, v7, s18
	v_mul_lo_u32 v6, v3, s19
	;; [unrolled: 1-line block ×3, first 2 shown]
	s_mov_b32 s3, 0
	v_subrev_u32_e32 v14, s36, v5
	v_subrev_u32_e32 v15, s37, v6
	v_mov_b32_e32 v5, 0
	v_subrev_u32_e32 v13, s23, v1
	v_mov_b32_e32 v6, 0
	s_mov_b64 s[44:45], s[26:27]
	s_branch .LBB48_6
.LBB48_5:                               ;   in Loop: Header=BB48_6 Depth=2
	s_add_i32 s3, s3, 1
	s_add_u32 s44, s44, s8
	s_addc_u32 s45, s45, s9
	s_cmp_eq_u32 s3, s70
	s_cbranch_scc1 .LBB48_18
.LBB48_6:                               ;   Parent Loop BB48_3 Depth=1
                                        ; =>  This Loop Header: Depth=2
                                        ;       Child Loop BB48_9 Depth 3
                                        ;         Child Loop BB48_12 Depth 4
                                        ;           Child Loop BB48_15 Depth 5
	s_andn2_b64 vcc, exec, s[6:7]
	s_cbranch_vccnz .LBB48_5
; %bb.7:                                ;   in Loop: Header=BB48_6 Depth=2
	s_mul_i32 s0, s3, s33
	s_mul_hi_u32 s1, s3, s68
	s_add_i32 s72, s1, s0
	s_mul_i32 s73, s3, s68
	s_mov_b32 s74, 0
	s_mov_b64 s[46:47], s[44:45]
	s_branch .LBB48_9
.LBB48_8:                               ;   in Loop: Header=BB48_9 Depth=3
	s_add_i32 s74, s74, 1
	s_add_u32 s46, s46, s12
	s_addc_u32 s47, s47, s13
	s_cmp_eq_u32 s74, s38
	s_cbranch_scc1 .LBB48_5
.LBB48_9:                               ;   Parent Loop BB48_3 Depth=1
                                        ;     Parent Loop BB48_6 Depth=2
                                        ; =>    This Loop Header: Depth=3
                                        ;         Child Loop BB48_12 Depth 4
                                        ;           Child Loop BB48_15 Depth 5
	s_andn2_b64 vcc, exec, s[24:25]
	s_cbranch_vccnz .LBB48_8
; %bb.10:                               ;   in Loop: Header=BB48_9 Depth=3
	s_mul_i32 s0, s74, s20
	v_add_u32_e32 v1, s0, v13
	v_mov_b32_e32 v8, s72
	v_add_co_u32_e32 v9, vcc, s73, v1
	v_addc_co_u32_e32 v8, vcc, 0, v8, vcc
	v_mul_lo_u32 v16, v8, s69
	v_mul_lo_u32 v17, v9, s56
	v_mad_u64_u32 v[8:9], s[0:1], v9, s69, 0
	v_cmp_gt_i32_e32 vcc, 0, v1
	v_cmp_le_i32_e64 s[0:1], s68, v1
	s_mov_b32 s75, 0
	s_or_b64 s[48:49], vcc, s[0:1]
	v_add3_u32 v9, v9, v17, v16
	s_mov_b64 s[50:51], s[46:47]
	s_branch .LBB48_12
.LBB48_11:                              ;   in Loop: Header=BB48_12 Depth=4
	s_add_i32 s75, s75, 1
	s_add_u32 s50, s50, s42
	s_addc_u32 s51, s51, s43
	s_cmp_eq_u32 s75, s39
	s_cbranch_scc1 .LBB48_8
.LBB48_12:                              ;   Parent Loop BB48_3 Depth=1
                                        ;     Parent Loop BB48_6 Depth=2
                                        ;       Parent Loop BB48_9 Depth=3
                                        ; =>      This Loop Header: Depth=4
                                        ;           Child Loop BB48_15 Depth 5
	s_andn2_b64 vcc, exec, s[34:35]
	s_cbranch_vccnz .LBB48_11
; %bb.13:                               ;   in Loop: Header=BB48_12 Depth=4
	s_mul_i32 s0, s75, s21
	v_add_u32_e32 v1, s0, v14
	v_add_co_u32_e64 v16, s[0:1], v8, v1
	v_addc_co_u32_e64 v17, s[0:1], 0, v9, s[0:1]
	v_mul_lo_u32 v18, v17, s10
	v_mul_lo_u32 v19, v16, s57
	v_mad_u64_u32 v[16:17], s[0:1], v16, s10, 0
	v_cmp_gt_i32_e32 vcc, 0, v1
	v_cmp_le_i32_e64 s[0:1], s69, v1
	v_add3_u32 v17, v17, v19, v18
	v_lshlrev_b64 v[16:17], 2, v[16:17]
	s_or_b64 s[0:1], vcc, s[0:1]
	v_mov_b32_e32 v1, s59
	v_add_co_u32_e32 v16, vcc, s58, v16
	s_or_b64 s[52:53], s[48:49], s[0:1]
	v_addc_co_u32_e32 v17, vcc, v1, v17, vcc
	v_mov_b32_e32 v1, v15
	s_mov_b64 s[54:55], s[50:51]
	s_mov_b32 s76, s2
	s_branch .LBB48_15
.LBB48_14:                              ;   in Loop: Header=BB48_15 Depth=5
	s_or_b64 exec, exec, s[0:1]
	s_add_i32 s76, s76, -1
	s_add_u32 s54, s54, 4
	s_addc_u32 s55, s55, 0
	s_cmp_eq_u32 s76, 0
	v_add_u32_e32 v1, s22, v1
	s_cbranch_scc1 .LBB48_11
.LBB48_15:                              ;   Parent Loop BB48_3 Depth=1
                                        ;     Parent Loop BB48_6 Depth=2
                                        ;       Parent Loop BB48_9 Depth=3
                                        ;         Parent Loop BB48_12 Depth=4
                                        ; =>        This Inner Loop Header: Depth=5
	v_cmp_gt_i32_e32 vcc, 0, v1
	v_cmp_le_i32_e64 s[0:1], s10, v1
	s_or_b64 s[0:1], vcc, s[0:1]
	s_nor_b64 s[78:79], s[52:53], s[0:1]
	s_and_saveexec_b64 s[0:1], s[78:79]
	s_cbranch_execz .LBB48_14
; %bb.16:                               ;   in Loop: Header=BB48_15 Depth=5
	v_lshlrev_b64 v[18:19], 2, v[1:2]
	s_load_dword s77, s[54:55], 0x0
	v_add_co_u32_e32 v18, vcc, v16, v18
	v_addc_co_u32_e32 v19, vcc, v17, v19, vcc
	global_load_dword v18, v[18:19], off
	s_waitcnt lgkmcnt(0)
	v_cvt_f64_f32_e32 v[20:21], s77
	s_waitcnt vmcnt(0)
	v_cvt_f64_f32_e32 v[18:19], v18
	v_fma_f64 v[5:6], v[18:19], v[20:21], v[5:6]
	s_branch .LBB48_14
.LBB48_17:                              ;   in Loop: Header=BB48_3 Depth=1
	v_mov_b32_e32 v5, 0
	v_mov_b32_e32 v6, 0
.LBB48_18:                              ;   in Loop: Header=BB48_3 Depth=1
	v_ashrrev_i32_e32 v8, 31, v7
	v_mad_i64_i32 v[7:8], s[0:1], v4, s71, v[7:8]
	v_ashrrev_i32_e32 v4, 31, v3
	v_lshlrev_b64 v[3:4], 2, v[3:4]
	v_mul_lo_u32 v1, v8, s16
	v_mul_lo_u32 v9, v7, s60
	v_mad_u64_u32 v[7:8], s[0:1], v7, s16, 0
	v_mov_b32_e32 v13, s62
	v_add3_u32 v8, v8, v9, v1
	v_lshlrev_b64 v[7:8], 2, v[7:8]
	v_add_co_u32_e32 v1, vcc, s61, v7
	v_addc_co_u32_e32 v7, vcc, v13, v8, vcc
	v_add_co_u32_e64 v3, s[0:1], v1, v3
	s_andn2_b64 vcc, exec, s[40:41]
	v_addc_co_u32_e64 v4, s[0:1], v7, v4, s[0:1]
	s_cbranch_vccnz .LBB48_2
; %bb.19:                               ;   in Loop: Header=BB48_3 Depth=1
	global_load_dword v1, v[3:4], off
	s_waitcnt vmcnt(0)
	v_cvt_f64_f32_e32 v[7:8], v1
	v_mul_f64 v[7:8], s[30:31], v[7:8]
	v_fma_f64 v[5:6], s[28:29], v[5:6], v[7:8]
	s_branch .LBB48_2
.LBB48_20:
	s_endpgm
	.section	.rodata,"a",@progbits
	.p2align	6, 0x0
	.amdhsa_kernel naive_conv_ab_packed_fwd_ncdhw_float_double_float
		.amdhsa_group_segment_fixed_size 0
		.amdhsa_private_segment_fixed_size 0
		.amdhsa_kernarg_size 528
		.amdhsa_user_sgpr_count 6
		.amdhsa_user_sgpr_private_segment_buffer 1
		.amdhsa_user_sgpr_dispatch_ptr 0
		.amdhsa_user_sgpr_queue_ptr 0
		.amdhsa_user_sgpr_kernarg_segment_ptr 1
		.amdhsa_user_sgpr_dispatch_id 0
		.amdhsa_user_sgpr_flat_scratch_init 0
		.amdhsa_user_sgpr_private_segment_size 0
		.amdhsa_uses_dynamic_stack 0
		.amdhsa_system_sgpr_private_segment_wavefront_offset 0
		.amdhsa_system_sgpr_workgroup_id_x 1
		.amdhsa_system_sgpr_workgroup_id_y 0
		.amdhsa_system_sgpr_workgroup_id_z 0
		.amdhsa_system_sgpr_workgroup_info 0
		.amdhsa_system_vgpr_workitem_id 0
		.amdhsa_next_free_vgpr 22
		.amdhsa_next_free_sgpr 80
		.amdhsa_reserve_vcc 1
		.amdhsa_reserve_flat_scratch 0
		.amdhsa_float_round_mode_32 0
		.amdhsa_float_round_mode_16_64 0
		.amdhsa_float_denorm_mode_32 3
		.amdhsa_float_denorm_mode_16_64 3
		.amdhsa_dx10_clamp 1
		.amdhsa_ieee_mode 1
		.amdhsa_fp16_overflow 0
		.amdhsa_exception_fp_ieee_invalid_op 0
		.amdhsa_exception_fp_denorm_src 0
		.amdhsa_exception_fp_ieee_div_zero 0
		.amdhsa_exception_fp_ieee_overflow 0
		.amdhsa_exception_fp_ieee_underflow 0
		.amdhsa_exception_fp_ieee_inexact 0
		.amdhsa_exception_int_div_zero 0
	.end_amdhsa_kernel
	.text
.Lfunc_end48:
	.size	naive_conv_ab_packed_fwd_ncdhw_float_double_float, .Lfunc_end48-naive_conv_ab_packed_fwd_ncdhw_float_double_float
                                        ; -- End function
	.set naive_conv_ab_packed_fwd_ncdhw_float_double_float.num_vgpr, 22
	.set naive_conv_ab_packed_fwd_ncdhw_float_double_float.num_agpr, 0
	.set naive_conv_ab_packed_fwd_ncdhw_float_double_float.numbered_sgpr, 80
	.set naive_conv_ab_packed_fwd_ncdhw_float_double_float.num_named_barrier, 0
	.set naive_conv_ab_packed_fwd_ncdhw_float_double_float.private_seg_size, 0
	.set naive_conv_ab_packed_fwd_ncdhw_float_double_float.uses_vcc, 1
	.set naive_conv_ab_packed_fwd_ncdhw_float_double_float.uses_flat_scratch, 0
	.set naive_conv_ab_packed_fwd_ncdhw_float_double_float.has_dyn_sized_stack, 0
	.set naive_conv_ab_packed_fwd_ncdhw_float_double_float.has_recursion, 0
	.set naive_conv_ab_packed_fwd_ncdhw_float_double_float.has_indirect_call, 0
	.section	.AMDGPU.csdata,"",@progbits
; Kernel info:
; codeLenInByte = 1852
; TotalNumSgprs: 84
; NumVgprs: 22
; ScratchSize: 0
; MemoryBound: 0
; FloatMode: 240
; IeeeMode: 1
; LDSByteSize: 0 bytes/workgroup (compile time only)
; SGPRBlocks: 10
; VGPRBlocks: 5
; NumSGPRsForWavesPerEU: 84
; NumVGPRsForWavesPerEU: 22
; Occupancy: 9
; WaveLimiterHint : 1
; COMPUTE_PGM_RSRC2:SCRATCH_EN: 0
; COMPUTE_PGM_RSRC2:USER_SGPR: 6
; COMPUTE_PGM_RSRC2:TRAP_HANDLER: 0
; COMPUTE_PGM_RSRC2:TGID_X_EN: 1
; COMPUTE_PGM_RSRC2:TGID_Y_EN: 0
; COMPUTE_PGM_RSRC2:TGID_Z_EN: 0
; COMPUTE_PGM_RSRC2:TIDIG_COMP_CNT: 0
	.text
	.protected	naive_conv_ab_nonpacked_fwd_ncdhw_float_double_float ; -- Begin function naive_conv_ab_nonpacked_fwd_ncdhw_float_double_float
	.globl	naive_conv_ab_nonpacked_fwd_ncdhw_float_double_float
	.p2align	8
	.type	naive_conv_ab_nonpacked_fwd_ncdhw_float_double_float,@function
naive_conv_ab_nonpacked_fwd_ncdhw_float_double_float: ; @naive_conv_ab_nonpacked_fwd_ncdhw_float_double_float
; %bb.0:
	s_load_dwordx16 s[8:23], s[4:5], 0xb8
	s_abs_i32 s7, s6
	s_waitcnt lgkmcnt(0)
	s_abs_i32 s1, s12
	v_cvt_f32_u32_e32 v1, s1
	s_sub_i32 s2, 0, s1
	s_mul_i32 s0, s12, s11
	s_mul_i32 s68, s16, s15
	v_rcp_iflag_f32_e32 v1, v1
	v_mul_f32_e32 v1, 0x4f7ffffe, v1
	v_cvt_u32_f32_e32 v1, v1
	v_readfirstlane_b32 s3, v1
	s_mul_i32 s2, s2, s3
	s_mul_hi_u32 s2, s3, s2
	s_add_i32 s3, s3, s2
	s_mul_hi_u32 s2, s7, s3
	s_mul_i32 s3, s2, s1
	s_sub_i32 s3, s7, s3
	s_add_i32 s24, s2, 1
	s_sub_i32 s25, s3, s1
	s_cmp_ge_u32 s3, s1
	s_cselect_b32 s2, s24, s2
	s_cselect_b32 s3, s25, s3
	s_add_i32 s24, s2, 1
	s_cmp_ge_u32 s3, s1
	s_cselect_b32 s1, s24, s2
	s_abs_i32 s34, s11
	s_abs_i32 s33, s0
	v_cvt_f32_u32_e32 v1, s34
	v_cvt_f32_u32_e32 v2, s33
	s_mul_i32 s11, s68, s14
	v_cmp_gt_i32_e32 vcc, s11, v0
	v_rcp_iflag_f32_e32 v1, v1
	v_rcp_iflag_f32_e32 v2, v2
	v_mul_f32_e32 v1, 0x4f7ffffe, v1
	v_mul_f32_e32 v2, 0x4f7ffffe, v2
	v_cvt_u32_f32_e32 v1, v1
	v_cvt_u32_f32_e32 v2, v2
	v_readfirstlane_b32 s3, v1
	v_readfirstlane_b32 s2, v2
	s_and_saveexec_b64 s[24:25], vcc
	s_cbranch_execz .LBB49_20
; %bb.1:
	s_ashr_i32 s14, s6, 31
	s_ashr_i32 s35, s12, 31
	s_xor_b32 s35, s14, s35
	s_xor_b32 s1, s1, s35
	s_sub_i32 s35, s1, s35
	s_sub_i32 s1, 0, s34
	s_mul_i32 s1, s1, s3
	s_mul_hi_u32 s1, s3, s1
	s_abs_i32 s53, s35
	s_add_i32 s3, s3, s1
	s_mul_hi_u32 s54, s53, s3
	s_ashr_i32 s55, s0, 31
	s_sub_i32 s0, 0, s33
	s_ashr_i32 s52, s35, 31
	s_mul_i32 s0, s0, s2
	s_mul_i32 s35, s35, s12
	;; [unrolled: 1-line block ×3, first 2 shown]
	s_mul_hi_u32 s0, s2, s0
	s_sub_i32 s69, s6, s35
	s_sub_i32 s6, s53, s54
	s_add_i32 s2, s2, s0
	s_sub_i32 s12, s6, s34
	s_cmp_ge_u32 s6, s34
	s_cselect_b32 s6, s12, s6
	s_sub_i32 s12, s6, s34
	s_mul_hi_u32 s56, s7, s2
	s_cmp_ge_u32 s6, s34
	s_cselect_b32 s6, s12, s6
	s_mul_i32 s12, s56, s33
	s_xor_b32 s6, s6, s52
	s_sub_i32 s7, s7, s12
	s_sub_i32 s52, s6, s52
	s_xor_b32 s6, s14, s55
	s_add_i32 s12, s56, 1
	s_sub_i32 s14, s7, s33
	s_cmp_ge_u32 s7, s33
	s_cselect_b32 s12, s12, s56
	s_cselect_b32 s7, s14, s7
	s_add_i32 s14, s12, 1
	s_load_dwordx16 s[36:51], s[4:5], 0x28
	s_load_dwordx4 s[0:3], s[4:5], 0xa8
	s_cmp_ge_u32 s7, s33
	s_cselect_b32 s7, s14, s12
	s_xor_b32 s7, s7, s6
	s_load_dwordx8 s[24:31], s[4:5], 0x0
	s_sub_i32 s14, s7, s6
	s_ashr_i32 s53, s52, 31
	s_waitcnt lgkmcnt(0)
	s_mul_i32 s6, s46, s53
	s_mul_hi_u32 s7, s46, s52
	s_ashr_i32 s70, s14, 31
	s_add_i32 s6, s7, s6
	s_mul_i32 s7, s47, s52
	s_mul_i32 s12, s44, s70
	s_mul_hi_u32 s33, s44, s14
	s_add_i32 s7, s6, s7
	s_mul_i32 s6, s46, s52
	s_add_i32 s12, s33, s12
	s_mul_i32 s33, s45, s14
	s_add_i32 s35, s12, s33
	s_lshl_b64 s[6:7], s[6:7], 2
	s_mul_i32 s34, s44, s14
	s_add_u32 s12, s24, s6
	s_addc_u32 s24, s25, s7
	s_lshl_b64 s[6:7], s[34:35], 2
	s_add_u32 s12, s12, s6
	s_addc_u32 s33, s24, s7
	s_mul_i32 s6, s2, s53
	s_mul_hi_u32 s7, s2, s52
	s_mul_i32 s3, s3, s52
	s_mul_i32 s2, s2, s52
	s_load_dwordx16 s[52:67], s[4:5], 0x68
	s_add_i32 s6, s7, s6
	s_add_i32 s3, s6, s3
	s_mul_i32 s6, s0, s70
	s_mul_hi_u32 s7, s0, s14
	s_load_dwordx2 s[24:25], s[4:5], 0x20
	s_mul_i32 s1, s1, s14
	s_ashr_i32 s71, s69, 31
	s_add_i32 s6, s7, s6
	s_add_i32 s1, s6, s1
	s_waitcnt lgkmcnt(0)
	s_mul_i32 s6, s66, s71
	s_mul_hi_u32 s7, s66, s69
	s_add_i32 s6, s7, s6
	s_mul_i32 s7, s67, s69
	s_add_i32 s7, s6, s7
	s_lshl_b64 s[2:3], s[2:3], 2
	s_mul_i32 s0, s0, s14
	s_add_u32 s2, s24, s2
	s_addc_u32 s3, s25, s3
	s_lshl_b64 s[0:1], s[0:1], 2
	s_load_dwordx4 s[44:47], s[4:5], 0xf8
	s_add_u32 s2, s2, s0
	s_mul_i32 s6, s66, s69
	s_addc_u32 s3, s3, s1
	s_lshl_b64 s[0:1], s[6:7], 2
	s_add_u32 s74, s2, s0
	s_addc_u32 s75, s3, s1
	s_load_dword s76, s[4:5], 0x108
	s_load_dword s66, s[4:5], 0x11c
	s_cmp_gt_i32 s13, 0
	s_cselect_b64 s[2:3], -1, 0
	s_waitcnt lgkmcnt(0)
	s_cmp_gt_i32 s46, 0
	s_cselect_b64 s[4:5], -1, 0
	s_cmp_gt_i32 s47, 0
	s_cselect_b64 s[6:7], -1, 0
	;; [unrolled: 2-line block ×3, first 2 shown]
	s_abs_i32 s79, s68
	s_abs_i32 s81, s16
	;; [unrolled: 1-line block ×3, first 2 shown]
	v_cmp_neq_f64_e64 s[0:1], s[28:29], 1.0
	v_cmp_neq_f64_e64 s[34:35], s[30:31], 0
	v_cvt_f32_u32_e32 v1, s81
	v_cvt_f32_u32_e32 v3, s82
	;; [unrolled: 1-line block ×3, first 2 shown]
	s_sub_i32 s15, 0, s82
	v_rcp_iflag_f32_e32 v1, v1
	v_rcp_iflag_f32_e32 v3, v3
	v_rcp_iflag_f32_e32 v5, v5
	s_or_b64 s[34:35], s[0:1], s[34:35]
	s_mul_i32 s0, s56, s71
	s_mul_hi_u32 s1, s56, s69
	v_mul_f32_e32 v1, 0x4f7ffffe, v1
	v_mul_f32_e32 v3, 0x4f7ffffe, v3
	;; [unrolled: 1-line block ×3, first 2 shown]
	s_add_i32 s0, s1, s0
	s_mul_i32 s1, s57, s69
	v_cvt_u32_f32_e32 v1, v1
	v_cvt_u32_f32_e32 v3, v3
	;; [unrolled: 1-line block ×3, first 2 shown]
	s_add_i32 s1, s0, s1
	s_mul_i32 s0, s56, s69
	s_mul_i32 s56, s58, s70
	s_mul_hi_u32 s57, s58, s14
	s_add_i32 s56, s57, s56
	s_mul_i32 s57, s59, s14
	s_add_i32 s57, s56, s57
	s_mul_i32 s56, s58, s14
	s_sub_i32 s14, 0, s81
	s_sub_i32 s58, 0, s79
	v_mul_lo_u32 v2, s14, v1
	v_mul_lo_u32 v4, s15, v3
	;; [unrolled: 1-line block ×3, first 2 shown]
	s_and_b32 s77, s66, 0xffff
	s_ashr_i32 s78, s68, 31
	s_lshl_b64 s[0:1], s[0:1], 2
	s_lshl_b64 s[56:57], s[56:57], 2
	s_ashr_i32 s80, s16, 31
	v_mul_hi_u32 v2, v1, v2
	v_mul_hi_u32 v4, v3, v4
	;; [unrolled: 1-line block ×3, first 2 shown]
	s_add_u32 s0, s0, s56
	s_addc_u32 s1, s1, s57
	s_add_u32 s14, s26, s0
	s_addc_u32 s15, s27, s1
	v_add_u32_e32 v5, v1, v2
	v_add_u32_e32 v6, v3, v4
	;; [unrolled: 1-line block ×3, first 2 shown]
	s_mov_b64 s[26:27], 0
	s_lshl_b64 s[54:55], s[54:55], 2
	s_lshl_b64 s[52:53], s[52:53], 2
	;; [unrolled: 1-line block ×4, first 2 shown]
	s_branch .LBB49_3
.LBB49_2:                               ;   in Loop: Header=BB49_3 Depth=1
	v_cvt_f32_f64_e32 v1, v[1:2]
	v_add_u32_e32 v0, s77, v0
	v_cmp_le_i32_e32 vcc, s11, v0
	s_or_b64 s[26:27], vcc, s[26:27]
	global_store_dword v[3:4], v1, off
	s_andn2_b64 exec, exec, s[26:27]
	s_cbranch_execz .LBB49_20
.LBB49_3:                               ; =>This Loop Header: Depth=1
                                        ;     Child Loop BB49_6 Depth 2
                                        ;       Child Loop BB49_9 Depth 3
                                        ;         Child Loop BB49_12 Depth 4
                                        ;           Child Loop BB49_15 Depth 5
	v_sub_u32_e32 v1, 0, v0
	v_max_i32_e32 v1, v0, v1
	v_mul_hi_u32 v2, v1, v5
	v_ashrrev_i32_e32 v8, 31, v0
	v_xor_b32_e32 v4, s80, v8
	v_mul_hi_u32 v11, v1, v7
	v_mul_lo_u32 v3, v2, s81
	v_add_u32_e32 v9, 1, v2
	v_sub_u32_e32 v3, v1, v3
	v_cmp_le_u32_e32 vcc, s81, v3
	v_cndmask_b32_e32 v2, v2, v9, vcc
	v_subrev_u32_e32 v9, s81, v3
	v_cndmask_b32_e32 v3, v3, v9, vcc
	v_add_u32_e32 v9, 1, v2
	v_cmp_le_u32_e32 vcc, s81, v3
	v_cndmask_b32_e32 v2, v2, v9, vcc
	v_xor_b32_e32 v2, v2, v4
	v_sub_u32_e32 v2, v2, v4
	v_sub_u32_e32 v3, 0, v2
	v_max_i32_e32 v4, v2, v3
	v_mul_hi_u32 v3, v4, v6
	v_mul_lo_u32 v9, v2, s16
	v_ashrrev_i32_e32 v2, 31, v2
	v_mul_lo_u32 v10, v3, s82
	v_sub_u32_e32 v3, v0, v9
	v_sub_u32_e32 v4, v4, v10
	v_subrev_u32_e32 v9, s82, v4
	v_cmp_le_u32_e32 vcc, s82, v4
	v_cndmask_b32_e32 v4, v4, v9, vcc
	v_subrev_u32_e32 v9, s82, v4
	v_cmp_le_u32_e32 vcc, s82, v4
	v_cndmask_b32_e32 v4, v4, v9, vcc
	v_mul_lo_u32 v9, v11, s79
	v_xor_b32_e32 v4, v4, v2
	v_sub_u32_e32 v4, v4, v2
	v_xor_b32_e32 v2, s78, v8
	v_sub_u32_e32 v1, v1, v9
	v_add_u32_e32 v8, 1, v11
	v_cmp_le_u32_e32 vcc, s79, v1
	v_subrev_u32_e32 v9, s79, v1
	v_cndmask_b32_e32 v8, v11, v8, vcc
	v_cndmask_b32_e32 v1, v1, v9, vcc
	v_add_u32_e32 v9, 1, v8
	v_cmp_le_u32_e32 vcc, s79, v1
	v_cndmask_b32_e32 v1, v8, v9, vcc
	v_xor_b32_e32 v1, v1, v2
	s_andn2_b64 vcc, exec, s[2:3]
	v_sub_u32_e32 v8, v1, v2
	s_cbranch_vccnz .LBB49_17
; %bb.4:                                ;   in Loop: Header=BB49_3 Depth=1
	v_mul_lo_u32 v1, v8, s17
	v_mul_lo_u32 v2, v4, s18
	;; [unrolled: 1-line block ×3, first 2 shown]
	s_mov_b32 s83, 0
	v_subrev_u32_e32 v9, s23, v1
	v_subrev_u32_e32 v10, s44, v2
	v_mov_b32_e32 v1, 0
	v_subrev_u32_e32 v11, s45, v11
	v_mov_b32_e32 v2, 0
	s_mov_b64 s[56:57], s[14:15]
	s_branch .LBB49_6
.LBB49_5:                               ;   in Loop: Header=BB49_6 Depth=2
	s_add_i32 s83, s83, 1
	s_add_u32 s56, s56, s54
	s_addc_u32 s57, s57, s55
	s_cmp_eq_u32 s83, s13
	s_cbranch_scc1 .LBB49_18
.LBB49_6:                               ;   Parent Loop BB49_3 Depth=1
                                        ; =>  This Loop Header: Depth=2
                                        ;       Child Loop BB49_9 Depth 3
                                        ;         Child Loop BB49_12 Depth 4
                                        ;           Child Loop BB49_15 Depth 5
	s_andn2_b64 vcc, exec, s[4:5]
	s_cbranch_vccnz .LBB49_5
; %bb.7:                                ;   in Loop: Header=BB49_6 Depth=2
	s_mul_i32 s0, s43, s83
	s_mul_hi_u32 s1, s42, s83
	s_add_i32 s1, s1, s0
	s_mul_i32 s0, s42, s83
	s_lshl_b64 s[0:1], s[0:1], 2
	s_add_u32 s84, s12, s0
	s_addc_u32 s85, s33, s1
	s_mov_b32 s86, 0
	s_mov_b64 s[58:59], s[56:57]
	s_branch .LBB49_9
.LBB49_8:                               ;   in Loop: Header=BB49_9 Depth=3
	s_add_i32 s86, s86, 1
	s_add_u32 s58, s58, s52
	s_addc_u32 s59, s59, s53
	s_cmp_eq_u32 s86, s46
	s_cbranch_scc1 .LBB49_5
.LBB49_9:                               ;   Parent Loop BB49_3 Depth=1
                                        ;     Parent Loop BB49_6 Depth=2
                                        ; =>    This Loop Header: Depth=3
                                        ;         Child Loop BB49_12 Depth 4
                                        ;           Child Loop BB49_15 Depth 5
	s_andn2_b64 vcc, exec, s[6:7]
	s_cbranch_vccnz .LBB49_8
; %bb.10:                               ;   in Loop: Header=BB49_9 Depth=3
	s_mul_i32 s0, s86, s20
	v_add_u32_e32 v15, s0, v9
	v_mad_u64_u32 v[12:13], s[0:1], s40, v15, 0
	v_cmp_gt_i32_e32 vcc, 0, v15
	s_mov_b32 s87, 0
	v_mad_u64_u32 v[13:14], s[0:1], s41, v15, v[13:14]
	v_cmp_le_i32_e64 s[0:1], s8, v15
	s_or_b64 s[66:67], vcc, s[0:1]
	v_lshlrev_b64 v[12:13], 2, v[12:13]
	v_mov_b32_e32 v14, s85
	v_add_co_u32_e32 v12, vcc, s84, v12
	v_addc_co_u32_e32 v13, vcc, v14, v13, vcc
	s_mov_b64 s[68:69], s[58:59]
	s_branch .LBB49_12
.LBB49_11:                              ;   in Loop: Header=BB49_12 Depth=4
	s_add_i32 s87, s87, 1
	s_add_u32 s68, s68, s50
	s_addc_u32 s69, s69, s51
	s_cmp_eq_u32 s87, s47
	s_cbranch_scc1 .LBB49_8
.LBB49_12:                              ;   Parent Loop BB49_3 Depth=1
                                        ;     Parent Loop BB49_6 Depth=2
                                        ;       Parent Loop BB49_9 Depth=3
                                        ; =>      This Loop Header: Depth=4
                                        ;           Child Loop BB49_15 Depth 5
	s_andn2_b64 vcc, exec, s[24:25]
	s_cbranch_vccnz .LBB49_11
; %bb.13:                               ;   in Loop: Header=BB49_12 Depth=4
	s_mul_i32 s0, s87, s21
	v_add_u32_e32 v17, s0, v10
	v_mad_u64_u32 v[14:15], s[0:1], s38, v17, 0
	v_cmp_gt_i32_e32 vcc, 0, v17
	s_mov_b64 s[72:73], s[68:69]
	v_mad_u64_u32 v[15:16], s[0:1], s39, v17, v[15:16]
	v_cmp_le_i32_e64 s[0:1], s9, v17
	s_or_b64 s[0:1], vcc, s[0:1]
	v_lshlrev_b64 v[14:15], 2, v[14:15]
	s_or_b64 s[70:71], s[66:67], s[0:1]
	v_add_co_u32_e32 v14, vcc, v12, v14
	v_addc_co_u32_e32 v15, vcc, v13, v15, vcc
	v_mov_b32_e32 v16, v11
	s_mov_b32 s88, s76
	s_branch .LBB49_15
.LBB49_14:                              ;   in Loop: Header=BB49_15 Depth=5
	s_or_b64 exec, exec, s[0:1]
	s_add_i32 s88, s88, -1
	s_add_u32 s72, s72, s48
	s_addc_u32 s73, s73, s49
	s_cmp_eq_u32 s88, 0
	v_add_u32_e32 v16, s22, v16
	s_cbranch_scc1 .LBB49_11
.LBB49_15:                              ;   Parent Loop BB49_3 Depth=1
                                        ;     Parent Loop BB49_6 Depth=2
                                        ;       Parent Loop BB49_9 Depth=3
                                        ;         Parent Loop BB49_12 Depth=4
                                        ; =>        This Inner Loop Header: Depth=5
	v_cmp_gt_i32_e32 vcc, 0, v16
	v_cmp_le_i32_e64 s[0:1], s10, v16
	s_or_b64 s[0:1], vcc, s[0:1]
	s_nor_b64 s[90:91], s[70:71], s[0:1]
	s_and_saveexec_b64 s[0:1], s[90:91]
	s_cbranch_execz .LBB49_14
; %bb.16:                               ;   in Loop: Header=BB49_15 Depth=5
	v_mad_u64_u32 v[17:18], s[90:91], s36, v16, 0
	s_load_dword s89, s[72:73], 0x0
	v_mad_u64_u32 v[18:19], s[90:91], s37, v16, v[18:19]
	s_waitcnt lgkmcnt(0)
	v_cvt_f64_f32_e32 v[19:20], s89
	v_lshlrev_b64 v[17:18], 2, v[17:18]
	v_add_co_u32_e32 v17, vcc, v14, v17
	v_addc_co_u32_e32 v18, vcc, v15, v18, vcc
	global_load_dword v17, v[17:18], off
	s_waitcnt vmcnt(0)
	v_cvt_f64_f32_e32 v[17:18], v17
	v_fma_f64 v[1:2], v[17:18], v[19:20], v[1:2]
	s_branch .LBB49_14
.LBB49_17:                              ;   in Loop: Header=BB49_3 Depth=1
	v_mov_b32_e32 v1, 0
	v_mov_b32_e32 v2, 0
.LBB49_18:                              ;   in Loop: Header=BB49_3 Depth=1
	v_ashrrev_i32_e32 v9, 31, v8
	v_mul_lo_u32 v12, s65, v8
	v_mul_lo_u32 v13, s64, v9
	v_mad_u64_u32 v[8:9], s[0:1], s64, v8, 0
	v_ashrrev_i32_e32 v10, 31, v4
	v_mul_lo_u32 v14, s63, v4
	v_mul_lo_u32 v15, s62, v10
	v_mad_u64_u32 v[10:11], s[0:1], s62, v4, 0
	;; [unrolled: 4-line block ×3, first 2 shown]
	v_add3_u32 v9, v9, v13, v12
	v_lshlrev_b64 v[8:9], 2, v[8:9]
	v_add3_u32 v11, v11, v15, v14
	v_mov_b32_e32 v12, s75
	v_add_co_u32_e32 v13, vcc, s74, v8
	v_add3_u32 v4, v4, v17, v16
	v_addc_co_u32_e32 v12, vcc, v12, v9, vcc
	v_lshlrev_b64 v[8:9], 2, v[10:11]
	v_lshlrev_b64 v[3:4], 2, v[3:4]
	v_add_co_u32_e32 v8, vcc, v13, v8
	v_addc_co_u32_e32 v9, vcc, v12, v9, vcc
	v_add_co_u32_e64 v3, s[0:1], v8, v3
	s_andn2_b64 vcc, exec, s[34:35]
	v_addc_co_u32_e64 v4, s[0:1], v9, v4, s[0:1]
	s_cbranch_vccnz .LBB49_2
; %bb.19:                               ;   in Loop: Header=BB49_3 Depth=1
	global_load_dword v8, v[3:4], off
	s_waitcnt vmcnt(0)
	v_cvt_f64_f32_e32 v[8:9], v8
	v_mul_f64 v[8:9], s[30:31], v[8:9]
	v_fma_f64 v[1:2], s[28:29], v[1:2], v[8:9]
	s_branch .LBB49_2
.LBB49_20:
	s_endpgm
	.section	.rodata,"a",@progbits
	.p2align	6, 0x0
	.amdhsa_kernel naive_conv_ab_nonpacked_fwd_ncdhw_float_double_float
		.amdhsa_group_segment_fixed_size 0
		.amdhsa_private_segment_fixed_size 0
		.amdhsa_kernarg_size 528
		.amdhsa_user_sgpr_count 6
		.amdhsa_user_sgpr_private_segment_buffer 1
		.amdhsa_user_sgpr_dispatch_ptr 0
		.amdhsa_user_sgpr_queue_ptr 0
		.amdhsa_user_sgpr_kernarg_segment_ptr 1
		.amdhsa_user_sgpr_dispatch_id 0
		.amdhsa_user_sgpr_flat_scratch_init 0
		.amdhsa_user_sgpr_private_segment_size 0
		.amdhsa_uses_dynamic_stack 0
		.amdhsa_system_sgpr_private_segment_wavefront_offset 0
		.amdhsa_system_sgpr_workgroup_id_x 1
		.amdhsa_system_sgpr_workgroup_id_y 0
		.amdhsa_system_sgpr_workgroup_id_z 0
		.amdhsa_system_sgpr_workgroup_info 0
		.amdhsa_system_vgpr_workitem_id 0
		.amdhsa_next_free_vgpr 21
		.amdhsa_next_free_sgpr 92
		.amdhsa_reserve_vcc 1
		.amdhsa_reserve_flat_scratch 0
		.amdhsa_float_round_mode_32 0
		.amdhsa_float_round_mode_16_64 0
		.amdhsa_float_denorm_mode_32 3
		.amdhsa_float_denorm_mode_16_64 3
		.amdhsa_dx10_clamp 1
		.amdhsa_ieee_mode 1
		.amdhsa_fp16_overflow 0
		.amdhsa_exception_fp_ieee_invalid_op 0
		.amdhsa_exception_fp_denorm_src 0
		.amdhsa_exception_fp_ieee_div_zero 0
		.amdhsa_exception_fp_ieee_overflow 0
		.amdhsa_exception_fp_ieee_underflow 0
		.amdhsa_exception_fp_ieee_inexact 0
		.amdhsa_exception_int_div_zero 0
	.end_amdhsa_kernel
	.text
.Lfunc_end49:
	.size	naive_conv_ab_nonpacked_fwd_ncdhw_float_double_float, .Lfunc_end49-naive_conv_ab_nonpacked_fwd_ncdhw_float_double_float
                                        ; -- End function
	.set naive_conv_ab_nonpacked_fwd_ncdhw_float_double_float.num_vgpr, 21
	.set naive_conv_ab_nonpacked_fwd_ncdhw_float_double_float.num_agpr, 0
	.set naive_conv_ab_nonpacked_fwd_ncdhw_float_double_float.numbered_sgpr, 92
	.set naive_conv_ab_nonpacked_fwd_ncdhw_float_double_float.num_named_barrier, 0
	.set naive_conv_ab_nonpacked_fwd_ncdhw_float_double_float.private_seg_size, 0
	.set naive_conv_ab_nonpacked_fwd_ncdhw_float_double_float.uses_vcc, 1
	.set naive_conv_ab_nonpacked_fwd_ncdhw_float_double_float.uses_flat_scratch, 0
	.set naive_conv_ab_nonpacked_fwd_ncdhw_float_double_float.has_dyn_sized_stack, 0
	.set naive_conv_ab_nonpacked_fwd_ncdhw_float_double_float.has_recursion, 0
	.set naive_conv_ab_nonpacked_fwd_ncdhw_float_double_float.has_indirect_call, 0
	.section	.AMDGPU.csdata,"",@progbits
; Kernel info:
; codeLenInByte = 1872
; TotalNumSgprs: 96
; NumVgprs: 21
; ScratchSize: 0
; MemoryBound: 0
; FloatMode: 240
; IeeeMode: 1
; LDSByteSize: 0 bytes/workgroup (compile time only)
; SGPRBlocks: 11
; VGPRBlocks: 5
; NumSGPRsForWavesPerEU: 96
; NumVGPRsForWavesPerEU: 21
; Occupancy: 8
; WaveLimiterHint : 1
; COMPUTE_PGM_RSRC2:SCRATCH_EN: 0
; COMPUTE_PGM_RSRC2:USER_SGPR: 6
; COMPUTE_PGM_RSRC2:TRAP_HANDLER: 0
; COMPUTE_PGM_RSRC2:TGID_X_EN: 1
; COMPUTE_PGM_RSRC2:TGID_Y_EN: 0
; COMPUTE_PGM_RSRC2:TGID_Z_EN: 0
; COMPUTE_PGM_RSRC2:TIDIG_COMP_CNT: 0
	.text
	.protected	naive_conv_ab_packed_fwd_ncdhw_half_double_half ; -- Begin function naive_conv_ab_packed_fwd_ncdhw_half_double_half
	.globl	naive_conv_ab_packed_fwd_ncdhw_half_double_half
	.p2align	8
	.type	naive_conv_ab_packed_fwd_ncdhw_half_double_half,@function
naive_conv_ab_packed_fwd_ncdhw_half_double_half: ; @naive_conv_ab_packed_fwd_ncdhw_half_double_half
; %bb.0:
	s_load_dwordx16 s[8:23], s[4:5], 0xb8
	s_abs_i32 s7, s6
	s_waitcnt lgkmcnt(0)
	s_abs_i32 s1, s12
	v_cvt_f32_u32_e32 v1, s1
	s_sub_i32 s2, 0, s1
	s_mul_i32 s0, s12, s11
	s_mul_i32 s42, s16, s15
	v_rcp_iflag_f32_e32 v1, v1
	v_mul_f32_e32 v1, 0x4f7ffffe, v1
	v_cvt_u32_f32_e32 v1, v1
	v_readfirstlane_b32 s3, v1
	s_mul_i32 s2, s2, s3
	s_mul_hi_u32 s2, s3, s2
	s_add_i32 s3, s3, s2
	s_mul_hi_u32 s2, s7, s3
	s_mul_i32 s3, s2, s1
	s_sub_i32 s3, s7, s3
	s_add_i32 s24, s2, 1
	s_sub_i32 s25, s3, s1
	s_cmp_ge_u32 s3, s1
	s_cselect_b32 s2, s24, s2
	s_cselect_b32 s3, s25, s3
	s_add_i32 s24, s2, 1
	s_cmp_ge_u32 s3, s1
	s_cselect_b32 s1, s24, s2
	s_abs_i32 s34, s11
	s_abs_i32 s33, s0
	v_cvt_f32_u32_e32 v1, s34
	v_cvt_f32_u32_e32 v2, s33
	s_mul_i32 s11, s42, s14
	v_cmp_gt_i32_e32 vcc, s11, v0
	v_rcp_iflag_f32_e32 v1, v1
	v_rcp_iflag_f32_e32 v2, v2
	v_mul_f32_e32 v1, 0x4f7ffffe, v1
	v_mul_f32_e32 v2, 0x4f7ffffe, v2
	v_cvt_u32_f32_e32 v1, v1
	v_cvt_u32_f32_e32 v2, v2
	v_readfirstlane_b32 s3, v1
	v_readfirstlane_b32 s2, v2
	s_and_saveexec_b64 s[24:25], vcc
	s_cbranch_execz .LBB50_22
; %bb.1:
	s_ashr_i32 s35, s6, 31
	s_ashr_i32 s36, s12, 31
	s_xor_b32 s36, s35, s36
	s_xor_b32 s1, s1, s36
	s_sub_i32 s40, s1, s36
	s_sub_i32 s1, 0, s34
	s_mul_i32 s1, s1, s3
	s_mul_hi_u32 s1, s3, s1
	s_ashr_i32 s45, s0, 31
	s_sub_i32 s0, 0, s33
	s_abs_i32 s43, s40
	s_add_i32 s3, s3, s1
	s_mul_i32 s0, s0, s2
	s_mul_hi_u32 s44, s43, s3
	s_mul_hi_u32 s0, s2, s0
	s_add_i32 s0, s2, s0
	s_mul_i32 s44, s44, s34
	s_load_dwordx8 s[24:31], s[4:5], 0x0
	s_ashr_i32 s41, s40, 31
	s_load_dwordx2 s[2:3], s[4:5], 0x108
	s_mul_hi_u32 s46, s7, s0
	s_load_dwordx2 s[0:1], s[4:5], 0x20
	s_load_dwordx4 s[36:39], s[4:5], 0xf8
	s_load_dword s47, s[4:5], 0x11c
	s_mul_i32 s40, s40, s12
	s_sub_i32 s4, s43, s44
	s_sub_i32 s6, s6, s40
	;; [unrolled: 1-line block ×3, first 2 shown]
	s_cmp_ge_u32 s4, s34
	s_cselect_b32 s4, s5, s4
	s_sub_i32 s5, s4, s34
	s_cmp_ge_u32 s4, s34
	s_cselect_b32 s4, s5, s4
	s_mul_i32 s5, s46, s33
	s_xor_b32 s4, s4, s41
	s_sub_i32 s5, s7, s5
	s_sub_i32 s34, s4, s41
	s_xor_b32 s4, s35, s45
	s_add_i32 s7, s46, 1
	s_sub_i32 s35, s5, s33
	s_cmp_ge_u32 s5, s33
	s_cselect_b32 s7, s7, s46
	s_cselect_b32 s5, s35, s5
	s_add_i32 s35, s7, 1
	s_cmp_ge_u32 s5, s33
	s_cselect_b32 s5, s35, s7
	s_xor_b32 s5, s5, s4
	s_waitcnt lgkmcnt(0)
	s_mul_i32 s48, s3, s12
	s_mul_i32 s3, s3, s13
	s_sub_i32 s7, s5, s4
	s_mul_hi_i32 s4, s34, s3
	s_mul_i32 s3, s34, s3
	s_ashr_i32 s33, s8, 31
	s_ashr_i32 s56, s9, 31
	;; [unrolled: 1-line block ×4, first 2 shown]
	s_mul_i32 s35, s7, s13
	s_mul_hi_i32 s5, s7, s13
	s_add_u32 s3, s35, s3
	s_mul_i32 s35, s9, s8
	s_addc_u32 s4, s5, s4
	s_mul_hi_i32 s5, s9, s8
	s_mul_i32 s40, s35, s57
	s_mul_hi_u32 s41, s35, s10
	s_add_i32 s40, s41, s40
	s_mul_i32 s5, s5, s10
	s_mul_i32 s35, s35, s10
	s_add_i32 s5, s40, s5
	s_mul_i32 s4, s35, s4
	s_mul_hi_u32 s40, s35, s3
	s_add_i32 s4, s40, s4
	s_mul_i32 s5, s5, s3
	s_add_i32 s5, s4, s5
	s_mul_i32 s4, s35, s3
	s_lshl_b64 s[4:5], s[4:5], 1
	s_add_u32 s58, s24, s4
	s_addc_u32 s59, s25, s5
	s_mul_hi_i32 s4, s7, s12
	s_mul_i32 s7, s7, s12
	s_ashr_i32 s12, s38, 31
	s_ashr_i32 s3, s2, 31
	;; [unrolled: 1-line block ×3, first 2 shown]
	s_add_u32 s46, s7, s6
	s_addc_u32 s49, s4, s5
	s_mul_hi_i32 s4, s34, s48
	s_mul_i32 s34, s34, s48
	s_ashr_i32 s60, s16, 31
	s_mul_i32 s7, s15, s14
	s_add_u32 s6, s46, s34
	s_mul_hi_i32 s5, s15, s14
	s_mul_i32 s14, s7, s60
	s_mul_hi_u32 s24, s7, s16
	s_addc_u32 s4, s49, s4
	s_add_i32 s14, s24, s14
	s_mul_i32 s5, s5, s16
	s_mul_i32 s7, s7, s16
	s_add_i32 s5, s14, s5
	s_mul_i32 s4, s7, s4
	s_mul_hi_u32 s14, s7, s6
	s_add_i32 s4, s14, s4
	s_mul_i32 s5, s5, s6
	s_add_i32 s5, s4, s5
	s_mul_i32 s4, s7, s6
	s_lshl_b64 s[4:5], s[4:5], 1
	s_add_u32 s61, s0, s4
	s_addc_u32 s62, s1, s5
	s_cmp_gt_i32 s13, 0
	v_cmp_neq_f64_e64 s[0:1], s[28:29], 1.0
	v_cmp_neq_f64_e64 s[40:41], s[30:31], 0
	s_cselect_b64 s[4:5], -1, 0
	s_cmp_gt_i32 s38, 0
	s_cselect_b64 s[6:7], -1, 0
	s_cmp_gt_i32 s39, 0
	;; [unrolled: 2-line block ×3, first 2 shown]
	s_cselect_b64 s[34:35], -1, 0
	s_abs_i32 s65, s15
	s_abs_i32 s64, s16
	;; [unrolled: 1-line block ×3, first 2 shown]
	v_cvt_f32_u32_e32 v2, s65
	v_cvt_f32_u32_e32 v1, s64
	;; [unrolled: 1-line block ×3, first 2 shown]
	s_or_b64 s[40:41], s[0:1], s[40:41]
	s_mul_i32 s0, s2, s39
	v_rcp_iflag_f32_e32 v2, v2
	s_mul_hi_i32 s1, s2, s39
	s_mul_i32 s12, s0, s12
	s_mul_hi_u32 s44, s0, s38
	v_rcp_iflag_f32_e32 v1, v1
	v_rcp_iflag_f32_e32 v3, v3
	s_add_i32 s12, s44, s12
	s_mul_i32 s44, s1, s38
	s_add_i32 s45, s12, s44
	s_mul_i32 s44, s0, s38
	s_and_b32 s63, s47, 0xffff
	s_mul_i32 s12, s44, s49
	s_mul_hi_u32 s47, s44, s46
	v_mul_f32_e32 v2, 0x4f7ffffe, v2
	s_add_i32 s12, s47, s12
	s_mul_i32 s47, s45, s46
	s_mul_i32 s46, s44, s46
	v_mul_f32_e32 v1, 0x4f7ffffe, v1
	v_cvt_u32_f32_e32 v5, v2
	v_mul_f32_e32 v2, 0x4f7ffffe, v3
	s_add_i32 s12, s12, s47
	s_mul_i32 s43, s46, s43
	s_mul_hi_u32 s47, s46, s13
	v_cvt_u32_f32_e32 v1, v1
	v_cvt_u32_f32_e32 v3, v2
	s_add_i32 s43, s47, s43
	s_mul_i32 s12, s12, s13
	s_add_i32 s47, s43, s12
	s_mul_i32 s46, s46, s13
	s_sub_i32 s14, 0, s64
	s_ashr_i32 s66, s42, 31
	s_lshl_b64 s[42:43], s[46:47], 1
	s_sub_i32 s12, 0, s65
	s_sub_i32 s46, 0, s67
	v_mul_lo_u32 v4, s14, v1
	v_mul_lo_u32 v2, s12, v5
	;; [unrolled: 1-line block ×3, first 2 shown]
	s_add_u32 s26, s26, s42
	v_mul_hi_u32 v4, v1, v4
	v_mul_hi_u32 v7, v5, v2
	;; [unrolled: 1-line block ×3, first 2 shown]
	s_addc_u32 s27, s27, s43
	s_mov_b32 s68, s8
	s_mov_b32 s69, s9
	;; [unrolled: 1-line block ×4, first 2 shown]
	v_add_u32_e32 v9, v1, v4
	v_mov_b32_e32 v2, 0
	v_add_u32_e32 v10, v5, v7
	v_add_u32_e32 v11, v3, v6
	s_lshl_b64 s[8:9], s[44:45], 1
	s_lshl_b64 s[12:13], s[0:1], 1
	s_movk_i32 s72, 0x1ff
	v_mov_b32_e32 v12, 0x7c00
	v_mov_b32_e32 v13, 0x7e00
	s_movk_i32 s73, 0xffe
	s_movk_i32 s74, 0x40f
	s_mov_b32 s75, 0x8000
	s_mov_b64 s[14:15], 0
	s_lshl_b64 s[42:43], s[2:3], 1
	s_branch .LBB50_3
.LBB50_2:                               ;   in Loop: Header=BB50_3 Depth=1
	v_add_u32_e32 v0, s63, v0
	v_cmp_le_i32_e32 vcc, s11, v0
	s_or_b64 s[14:15], vcc, s[14:15]
	s_andn2_b64 exec, exec, s[14:15]
	s_cbranch_execz .LBB50_22
.LBB50_3:                               ; =>This Loop Header: Depth=1
                                        ;     Child Loop BB50_6 Depth 2
                                        ;       Child Loop BB50_9 Depth 3
                                        ;         Child Loop BB50_12 Depth 4
                                        ;           Child Loop BB50_15 Depth 5
	v_sub_u32_e32 v1, 0, v0
	v_max_i32_e32 v1, v0, v1
	v_mul_hi_u32 v3, v1, v9
	v_ashrrev_i32_e32 v7, 31, v0
	v_xor_b32_e32 v5, s60, v7
	v_mul_hi_u32 v14, v1, v11
	v_mul_lo_u32 v4, v3, s64
	v_add_u32_e32 v6, 1, v3
	v_sub_u32_e32 v4, v1, v4
	v_cmp_le_u32_e32 vcc, s64, v4
	v_cndmask_b32_e32 v3, v3, v6, vcc
	v_subrev_u32_e32 v6, s64, v4
	v_cndmask_b32_e32 v4, v4, v6, vcc
	v_add_u32_e32 v6, 1, v3
	v_cmp_le_u32_e32 vcc, s64, v4
	v_cndmask_b32_e32 v3, v3, v6, vcc
	v_xor_b32_e32 v3, v3, v5
	v_sub_u32_e32 v3, v3, v5
	v_sub_u32_e32 v4, 0, v3
	v_max_i32_e32 v4, v3, v4
	v_mul_hi_u32 v5, v4, v10
	v_mul_lo_u32 v6, v3, s16
	v_ashrrev_i32_e32 v3, 31, v3
	v_mul_lo_u32 v8, v5, s65
	v_sub_u32_e32 v5, v0, v6
	v_sub_u32_e32 v4, v4, v8
	v_subrev_u32_e32 v6, s65, v4
	v_cmp_le_u32_e32 vcc, s65, v4
	v_mul_lo_u32 v8, v14, s67
	v_cndmask_b32_e32 v4, v4, v6, vcc
	v_subrev_u32_e32 v6, s65, v4
	v_cmp_le_u32_e32 vcc, s65, v4
	v_cndmask_b32_e32 v4, v4, v6, vcc
	v_xor_b32_e32 v4, v4, v3
	v_sub_u32_e32 v1, v1, v8
	v_sub_u32_e32 v6, v4, v3
	v_xor_b32_e32 v3, s66, v7
	v_add_u32_e32 v4, 1, v14
	v_cmp_le_u32_e32 vcc, s67, v1
	v_subrev_u32_e32 v7, s67, v1
	v_cndmask_b32_e32 v4, v14, v4, vcc
	v_cndmask_b32_e32 v1, v1, v7, vcc
	v_add_u32_e32 v7, 1, v4
	v_cmp_le_u32_e32 vcc, s67, v1
	v_cndmask_b32_e32 v1, v4, v7, vcc
	v_xor_b32_e32 v1, v1, v3
	s_andn2_b64 vcc, exec, s[4:5]
	v_sub_u32_e32 v14, v1, v3
	s_cbranch_vccnz .LBB50_17
; %bb.4:                                ;   in Loop: Header=BB50_3 Depth=1
	v_mul_lo_u32 v3, v6, s18
	v_mul_lo_u32 v4, v5, s19
	;; [unrolled: 1-line block ×3, first 2 shown]
	s_mov_b32 s3, 0
	v_subrev_u32_e32 v16, s36, v3
	v_subrev_u32_e32 v17, s37, v4
	v_mov_b32_e32 v3, 0
	v_subrev_u32_e32 v15, s23, v1
	v_mov_b32_e32 v4, 0
	s_mov_b64 s[44:45], s[26:27]
	s_branch .LBB50_6
.LBB50_5:                               ;   in Loop: Header=BB50_6 Depth=2
	s_add_i32 s3, s3, 1
	s_add_u32 s44, s44, s8
	s_addc_u32 s45, s45, s9
	s_cmp_eq_u32 s3, s70
	s_cbranch_scc1 .LBB50_18
.LBB50_6:                               ;   Parent Loop BB50_3 Depth=1
                                        ; =>  This Loop Header: Depth=2
                                        ;       Child Loop BB50_9 Depth 3
                                        ;         Child Loop BB50_12 Depth 4
                                        ;           Child Loop BB50_15 Depth 5
	s_andn2_b64 vcc, exec, s[6:7]
	s_cbranch_vccnz .LBB50_5
; %bb.7:                                ;   in Loop: Header=BB50_6 Depth=2
	s_mul_i32 s0, s3, s33
	s_mul_hi_u32 s1, s3, s68
	s_add_i32 s76, s1, s0
	s_mul_i32 s77, s3, s68
	s_mov_b32 s78, 0
	s_mov_b64 s[46:47], s[44:45]
	s_branch .LBB50_9
.LBB50_8:                               ;   in Loop: Header=BB50_9 Depth=3
	s_add_i32 s78, s78, 1
	s_add_u32 s46, s46, s12
	s_addc_u32 s47, s47, s13
	s_cmp_eq_u32 s78, s38
	s_cbranch_scc1 .LBB50_5
.LBB50_9:                               ;   Parent Loop BB50_3 Depth=1
                                        ;     Parent Loop BB50_6 Depth=2
                                        ; =>    This Loop Header: Depth=3
                                        ;         Child Loop BB50_12 Depth 4
                                        ;           Child Loop BB50_15 Depth 5
	s_andn2_b64 vcc, exec, s[24:25]
	s_cbranch_vccnz .LBB50_8
; %bb.10:                               ;   in Loop: Header=BB50_9 Depth=3
	s_mul_i32 s0, s78, s20
	v_add_u32_e32 v1, s0, v15
	v_mov_b32_e32 v7, s76
	v_add_co_u32_e32 v8, vcc, s77, v1
	v_addc_co_u32_e32 v7, vcc, 0, v7, vcc
	v_mul_lo_u32 v18, v7, s69
	v_mul_lo_u32 v19, v8, s56
	v_mad_u64_u32 v[7:8], s[0:1], v8, s69, 0
	v_cmp_gt_i32_e32 vcc, 0, v1
	v_cmp_le_i32_e64 s[0:1], s68, v1
	s_mov_b32 s79, 0
	s_or_b64 s[48:49], vcc, s[0:1]
	v_add3_u32 v8, v8, v19, v18
	s_mov_b64 s[50:51], s[46:47]
	s_branch .LBB50_12
.LBB50_11:                              ;   in Loop: Header=BB50_12 Depth=4
	s_add_i32 s79, s79, 1
	s_add_u32 s50, s50, s42
	s_addc_u32 s51, s51, s43
	s_cmp_eq_u32 s79, s39
	s_cbranch_scc1 .LBB50_8
.LBB50_12:                              ;   Parent Loop BB50_3 Depth=1
                                        ;     Parent Loop BB50_6 Depth=2
                                        ;       Parent Loop BB50_9 Depth=3
                                        ; =>      This Loop Header: Depth=4
                                        ;           Child Loop BB50_15 Depth 5
	s_andn2_b64 vcc, exec, s[34:35]
	s_cbranch_vccnz .LBB50_11
; %bb.13:                               ;   in Loop: Header=BB50_12 Depth=4
	s_mul_i32 s0, s79, s21
	v_add_u32_e32 v1, s0, v16
	v_add_co_u32_e64 v18, s[0:1], v7, v1
	v_addc_co_u32_e64 v19, s[0:1], 0, v8, s[0:1]
	v_mul_lo_u32 v20, v19, s10
	v_mul_lo_u32 v21, v18, s57
	v_mad_u64_u32 v[18:19], s[0:1], v18, s10, 0
	v_cmp_gt_i32_e32 vcc, 0, v1
	v_cmp_le_i32_e64 s[0:1], s69, v1
	v_add3_u32 v19, v19, v21, v20
	v_lshlrev_b64 v[18:19], 1, v[18:19]
	s_or_b64 s[0:1], vcc, s[0:1]
	v_mov_b32_e32 v1, s59
	v_add_co_u32_e32 v18, vcc, s58, v18
	s_or_b64 s[52:53], s[48:49], s[0:1]
	v_addc_co_u32_e32 v19, vcc, v1, v19, vcc
	v_mov_b32_e32 v1, v17
	s_mov_b64 s[54:55], s[50:51]
	s_mov_b32 s80, s2
	s_branch .LBB50_15
.LBB50_14:                              ;   in Loop: Header=BB50_15 Depth=5
	s_or_b64 exec, exec, s[0:1]
	s_add_i32 s80, s80, -1
	s_add_u32 s54, s54, 2
	s_addc_u32 s55, s55, 0
	s_cmp_eq_u32 s80, 0
	v_add_u32_e32 v1, s22, v1
	s_cbranch_scc1 .LBB50_11
.LBB50_15:                              ;   Parent Loop BB50_3 Depth=1
                                        ;     Parent Loop BB50_6 Depth=2
                                        ;       Parent Loop BB50_9 Depth=3
                                        ;         Parent Loop BB50_12 Depth=4
                                        ; =>        This Inner Loop Header: Depth=5
	v_cmp_gt_i32_e32 vcc, 0, v1
	v_cmp_le_i32_e64 s[0:1], s10, v1
	s_or_b64 s[0:1], vcc, s[0:1]
	s_nor_b64 s[82:83], s[52:53], s[0:1]
	s_and_saveexec_b64 s[0:1], s[82:83]
	s_cbranch_execz .LBB50_14
; %bb.16:                               ;   in Loop: Header=BB50_15 Depth=5
	v_lshlrev_b64 v[20:21], 1, v[1:2]
	v_add_co_u32_e32 v20, vcc, v18, v20
	v_addc_co_u32_e32 v21, vcc, v19, v21, vcc
	global_load_ushort v20, v[20:21], off
	s_nop 0
	global_load_ushort v21, v2, s[54:55]
	s_waitcnt vmcnt(1)
	v_cvt_f32_f16_e32 v20, v20
	s_waitcnt vmcnt(0)
	v_cvt_f32_f16_e32 v22, v21
	v_cvt_f64_f32_e32 v[20:21], v20
	v_cvt_f64_f32_e32 v[22:23], v22
	v_fma_f64 v[3:4], v[20:21], v[22:23], v[3:4]
	s_branch .LBB50_14
.LBB50_17:                              ;   in Loop: Header=BB50_3 Depth=1
	v_mov_b32_e32 v3, 0
	v_mov_b32_e32 v4, 0
.LBB50_18:                              ;   in Loop: Header=BB50_3 Depth=1
	v_ashrrev_i32_e32 v7, 31, v6
	v_mad_i64_i32 v[7:8], s[0:1], v14, s71, v[6:7]
	v_ashrrev_i32_e32 v6, 31, v5
	s_and_b64 vcc, exec, s[40:41]
	v_mad_u64_u32 v[5:6], s[0:1], v7, s16, v[5:6]
	v_mul_lo_u32 v1, v7, s60
	v_mul_lo_u32 v7, v8, s16
	s_mov_b64 s[0:1], -1
	v_add3_u32 v6, v7, v6, v1
	v_lshlrev_b64 v[5:6], 1, v[5:6]
	s_cbranch_vccz .LBB50_20
; %bb.19:                               ;   in Loop: Header=BB50_3 Depth=1
	v_mov_b32_e32 v1, s62
	v_add_co_u32_e32 v7, vcc, s61, v5
	v_addc_co_u32_e32 v8, vcc, v1, v6, vcc
	global_load_ushort v1, v[7:8], off
	s_mov_b64 s[0:1], 0
	s_waitcnt vmcnt(0)
	v_cvt_f32_f16_e32 v1, v1
	v_cvt_f64_f32_e32 v[14:15], v1
	v_mul_f64 v[14:15], s[30:31], v[14:15]
	v_fma_f64 v[14:15], s[28:29], v[3:4], v[14:15]
	v_and_or_b32 v1, v15, s72, v14
	v_cmp_ne_u32_e32 vcc, 0, v1
	v_lshrrev_b32_e32 v14, 8, v15
	v_bfe_u32 v16, v15, 20, 11
	v_cndmask_b32_e64 v1, 0, 1, vcc
	v_sub_u32_e32 v17, 0x3f1, v16
	v_and_or_b32 v1, v14, s73, v1
	v_med3_i32 v14, v17, 0, 13
	v_or_b32_e32 v17, 0x1000, v1
	v_lshrrev_b32_e32 v19, v14, v17
	v_add_u32_e32 v16, 0xfffffc10, v16
	v_cmp_ne_u32_e32 vcc, 0, v1
	v_lshlrev_b32_e32 v14, v14, v19
	v_lshl_or_b32 v18, v16, 12, v1
	v_cndmask_b32_e32 v1, v12, v13, vcc
	v_cmp_ne_u32_e32 vcc, v14, v17
	v_cndmask_b32_e64 v14, 0, 1, vcc
	v_or_b32_e32 v14, v19, v14
	v_cmp_gt_i32_e32 vcc, 1, v16
	v_cndmask_b32_e32 v14, v18, v14, vcc
	v_and_b32_e32 v17, 7, v14
	v_cmp_lt_i32_e32 vcc, 5, v17
	v_cndmask_b32_e64 v18, 0, 1, vcc
	v_cmp_eq_u32_e32 vcc, 3, v17
	v_cndmask_b32_e64 v17, 0, 1, vcc
	v_lshrrev_b32_e32 v14, 2, v14
	v_or_b32_e32 v17, v17, v18
	v_add_u32_e32 v14, v14, v17
	v_cmp_gt_i32_e32 vcc, 31, v16
	v_cndmask_b32_e32 v14, v12, v14, vcc
	v_cmp_eq_u32_e32 vcc, s74, v16
	v_lshrrev_b32_e32 v15, 16, v15
	v_cndmask_b32_e32 v1, v14, v1, vcc
	v_and_or_b32 v1, v15, s75, v1
	global_store_short v[7:8], v1, off
.LBB50_20:                              ;   in Loop: Header=BB50_3 Depth=1
	s_andn2_b64 vcc, exec, s[0:1]
	s_cbranch_vccnz .LBB50_2
; %bb.21:                               ;   in Loop: Header=BB50_3 Depth=1
	v_and_or_b32 v1, v4, s72, v3
	v_cmp_ne_u32_e32 vcc, 0, v1
	v_cndmask_b32_e64 v1, 0, 1, vcc
	v_lshrrev_b32_e32 v3, 8, v4
	v_bfe_u32 v7, v4, 20, 11
	v_and_or_b32 v1, v3, s73, v1
	v_sub_u32_e32 v8, 0x3f1, v7
	v_or_b32_e32 v3, 0x1000, v1
	v_med3_i32 v8, v8, 0, 13
	v_lshrrev_b32_e32 v14, v8, v3
	v_lshlrev_b32_e32 v8, v8, v14
	v_cmp_ne_u32_e32 vcc, v8, v3
	v_cndmask_b32_e64 v3, 0, 1, vcc
	v_add_u32_e32 v7, 0xfffffc10, v7
	v_or_b32_e32 v3, v14, v3
	v_lshl_or_b32 v8, v7, 12, v1
	v_cmp_gt_i32_e32 vcc, 1, v7
	v_cndmask_b32_e32 v3, v8, v3, vcc
	v_and_b32_e32 v8, 7, v3
	v_cmp_lt_i32_e32 vcc, 5, v8
	v_cndmask_b32_e64 v14, 0, 1, vcc
	v_cmp_eq_u32_e32 vcc, 3, v8
	v_cndmask_b32_e64 v8, 0, 1, vcc
	v_or_b32_e32 v8, v8, v14
	v_lshrrev_b32_e32 v3, 2, v3
	v_add_u32_e32 v3, v3, v8
	v_cmp_gt_i32_e32 vcc, 31, v7
	v_cndmask_b32_e32 v3, v12, v3, vcc
	v_cmp_ne_u32_e32 vcc, 0, v1
	v_cndmask_b32_e32 v1, v12, v13, vcc
	v_cmp_eq_u32_e32 vcc, s74, v7
	v_cndmask_b32_e32 v1, v3, v1, vcc
	v_lshrrev_b32_e32 v3, 16, v4
	v_and_or_b32 v1, v3, s75, v1
	v_mov_b32_e32 v4, s62
	v_add_co_u32_e32 v3, vcc, s61, v5
	v_addc_co_u32_e32 v4, vcc, v4, v6, vcc
	global_store_short v[3:4], v1, off
	s_branch .LBB50_2
.LBB50_22:
	s_endpgm
	.section	.rodata,"a",@progbits
	.p2align	6, 0x0
	.amdhsa_kernel naive_conv_ab_packed_fwd_ncdhw_half_double_half
		.amdhsa_group_segment_fixed_size 0
		.amdhsa_private_segment_fixed_size 0
		.amdhsa_kernarg_size 528
		.amdhsa_user_sgpr_count 6
		.amdhsa_user_sgpr_private_segment_buffer 1
		.amdhsa_user_sgpr_dispatch_ptr 0
		.amdhsa_user_sgpr_queue_ptr 0
		.amdhsa_user_sgpr_kernarg_segment_ptr 1
		.amdhsa_user_sgpr_dispatch_id 0
		.amdhsa_user_sgpr_flat_scratch_init 0
		.amdhsa_user_sgpr_private_segment_size 0
		.amdhsa_uses_dynamic_stack 0
		.amdhsa_system_sgpr_private_segment_wavefront_offset 0
		.amdhsa_system_sgpr_workgroup_id_x 1
		.amdhsa_system_sgpr_workgroup_id_y 0
		.amdhsa_system_sgpr_workgroup_id_z 0
		.amdhsa_system_sgpr_workgroup_info 0
		.amdhsa_system_vgpr_workitem_id 0
		.amdhsa_next_free_vgpr 24
		.amdhsa_next_free_sgpr 84
		.amdhsa_reserve_vcc 1
		.amdhsa_reserve_flat_scratch 0
		.amdhsa_float_round_mode_32 0
		.amdhsa_float_round_mode_16_64 0
		.amdhsa_float_denorm_mode_32 3
		.amdhsa_float_denorm_mode_16_64 3
		.amdhsa_dx10_clamp 1
		.amdhsa_ieee_mode 1
		.amdhsa_fp16_overflow 0
		.amdhsa_exception_fp_ieee_invalid_op 0
		.amdhsa_exception_fp_denorm_src 0
		.amdhsa_exception_fp_ieee_div_zero 0
		.amdhsa_exception_fp_ieee_overflow 0
		.amdhsa_exception_fp_ieee_underflow 0
		.amdhsa_exception_fp_ieee_inexact 0
		.amdhsa_exception_int_div_zero 0
	.end_amdhsa_kernel
	.text
.Lfunc_end50:
	.size	naive_conv_ab_packed_fwd_ncdhw_half_double_half, .Lfunc_end50-naive_conv_ab_packed_fwd_ncdhw_half_double_half
                                        ; -- End function
	.set naive_conv_ab_packed_fwd_ncdhw_half_double_half.num_vgpr, 24
	.set naive_conv_ab_packed_fwd_ncdhw_half_double_half.num_agpr, 0
	.set naive_conv_ab_packed_fwd_ncdhw_half_double_half.numbered_sgpr, 84
	.set naive_conv_ab_packed_fwd_ncdhw_half_double_half.num_named_barrier, 0
	.set naive_conv_ab_packed_fwd_ncdhw_half_double_half.private_seg_size, 0
	.set naive_conv_ab_packed_fwd_ncdhw_half_double_half.uses_vcc, 1
	.set naive_conv_ab_packed_fwd_ncdhw_half_double_half.uses_flat_scratch, 0
	.set naive_conv_ab_packed_fwd_ncdhw_half_double_half.has_dyn_sized_stack, 0
	.set naive_conv_ab_packed_fwd_ncdhw_half_double_half.has_recursion, 0
	.set naive_conv_ab_packed_fwd_ncdhw_half_double_half.has_indirect_call, 0
	.section	.AMDGPU.csdata,"",@progbits
; Kernel info:
; codeLenInByte = 2288
; TotalNumSgprs: 88
; NumVgprs: 24
; ScratchSize: 0
; MemoryBound: 0
; FloatMode: 240
; IeeeMode: 1
; LDSByteSize: 0 bytes/workgroup (compile time only)
; SGPRBlocks: 10
; VGPRBlocks: 5
; NumSGPRsForWavesPerEU: 88
; NumVGPRsForWavesPerEU: 24
; Occupancy: 9
; WaveLimiterHint : 1
; COMPUTE_PGM_RSRC2:SCRATCH_EN: 0
; COMPUTE_PGM_RSRC2:USER_SGPR: 6
; COMPUTE_PGM_RSRC2:TRAP_HANDLER: 0
; COMPUTE_PGM_RSRC2:TGID_X_EN: 1
; COMPUTE_PGM_RSRC2:TGID_Y_EN: 0
; COMPUTE_PGM_RSRC2:TGID_Z_EN: 0
; COMPUTE_PGM_RSRC2:TIDIG_COMP_CNT: 0
	.text
	.protected	naive_conv_ab_nonpacked_fwd_ncdhw_half_double_half ; -- Begin function naive_conv_ab_nonpacked_fwd_ncdhw_half_double_half
	.globl	naive_conv_ab_nonpacked_fwd_ncdhw_half_double_half
	.p2align	8
	.type	naive_conv_ab_nonpacked_fwd_ncdhw_half_double_half,@function
naive_conv_ab_nonpacked_fwd_ncdhw_half_double_half: ; @naive_conv_ab_nonpacked_fwd_ncdhw_half_double_half
; %bb.0:
	s_load_dwordx16 s[8:23], s[4:5], 0xb8
	s_abs_i32 s7, s6
	s_waitcnt lgkmcnt(0)
	s_abs_i32 s1, s12
	v_cvt_f32_u32_e32 v1, s1
	s_sub_i32 s2, 0, s1
	s_mul_i32 s0, s12, s11
	s_mul_i32 s68, s16, s15
	v_rcp_iflag_f32_e32 v1, v1
	v_mul_f32_e32 v1, 0x4f7ffffe, v1
	v_cvt_u32_f32_e32 v1, v1
	v_readfirstlane_b32 s3, v1
	s_mul_i32 s2, s2, s3
	s_mul_hi_u32 s2, s3, s2
	s_add_i32 s3, s3, s2
	s_mul_hi_u32 s2, s7, s3
	s_mul_i32 s3, s2, s1
	s_sub_i32 s3, s7, s3
	s_add_i32 s24, s2, 1
	s_sub_i32 s25, s3, s1
	s_cmp_ge_u32 s3, s1
	s_cselect_b32 s2, s24, s2
	s_cselect_b32 s3, s25, s3
	s_add_i32 s24, s2, 1
	s_cmp_ge_u32 s3, s1
	s_cselect_b32 s1, s24, s2
	s_abs_i32 s34, s11
	s_abs_i32 s33, s0
	v_cvt_f32_u32_e32 v1, s34
	v_cvt_f32_u32_e32 v2, s33
	s_mul_i32 s11, s68, s14
	v_cmp_gt_i32_e32 vcc, s11, v0
	v_rcp_iflag_f32_e32 v1, v1
	v_rcp_iflag_f32_e32 v2, v2
	v_mul_f32_e32 v1, 0x4f7ffffe, v1
	v_mul_f32_e32 v2, 0x4f7ffffe, v2
	v_cvt_u32_f32_e32 v1, v1
	v_cvt_u32_f32_e32 v2, v2
	v_readfirstlane_b32 s3, v1
	v_readfirstlane_b32 s2, v2
	s_and_saveexec_b64 s[24:25], vcc
	s_cbranch_execz .LBB51_22
; %bb.1:
	s_ashr_i32 s14, s6, 31
	s_ashr_i32 s35, s12, 31
	s_xor_b32 s35, s14, s35
	s_xor_b32 s1, s1, s35
	s_sub_i32 s35, s1, s35
	s_sub_i32 s1, 0, s34
	s_mul_i32 s1, s1, s3
	s_mul_hi_u32 s1, s3, s1
	s_abs_i32 s53, s35
	s_add_i32 s3, s3, s1
	s_mul_hi_u32 s54, s53, s3
	s_ashr_i32 s55, s0, 31
	s_sub_i32 s0, 0, s33
	s_ashr_i32 s52, s35, 31
	s_mul_i32 s0, s0, s2
	s_mul_i32 s35, s35, s12
	;; [unrolled: 1-line block ×3, first 2 shown]
	s_mul_hi_u32 s0, s2, s0
	s_sub_i32 s69, s6, s35
	s_sub_i32 s6, s53, s54
	s_add_i32 s2, s2, s0
	s_sub_i32 s12, s6, s34
	s_cmp_ge_u32 s6, s34
	s_cselect_b32 s6, s12, s6
	s_sub_i32 s12, s6, s34
	s_mul_hi_u32 s56, s7, s2
	s_cmp_ge_u32 s6, s34
	s_cselect_b32 s6, s12, s6
	s_mul_i32 s12, s56, s33
	s_xor_b32 s6, s6, s52
	s_sub_i32 s7, s7, s12
	s_sub_i32 s52, s6, s52
	s_xor_b32 s6, s14, s55
	s_add_i32 s12, s56, 1
	s_sub_i32 s14, s7, s33
	s_cmp_ge_u32 s7, s33
	s_cselect_b32 s12, s12, s56
	s_cselect_b32 s7, s14, s7
	s_add_i32 s14, s12, 1
	s_load_dwordx16 s[36:51], s[4:5], 0x28
	s_load_dwordx4 s[0:3], s[4:5], 0xa8
	s_cmp_ge_u32 s7, s33
	s_cselect_b32 s7, s14, s12
	s_xor_b32 s7, s7, s6
	s_load_dwordx8 s[24:31], s[4:5], 0x0
	s_sub_i32 s14, s7, s6
	s_ashr_i32 s53, s52, 31
	s_waitcnt lgkmcnt(0)
	s_mul_i32 s6, s46, s53
	s_mul_hi_u32 s7, s46, s52
	s_ashr_i32 s70, s14, 31
	s_add_i32 s6, s7, s6
	s_mul_i32 s7, s47, s52
	s_mul_i32 s12, s44, s70
	s_mul_hi_u32 s33, s44, s14
	s_add_i32 s7, s6, s7
	s_mul_i32 s6, s46, s52
	s_add_i32 s12, s33, s12
	s_mul_i32 s33, s45, s14
	s_add_i32 s35, s12, s33
	s_lshl_b64 s[6:7], s[6:7], 1
	s_mul_i32 s34, s44, s14
	s_add_u32 s12, s24, s6
	s_addc_u32 s24, s25, s7
	s_lshl_b64 s[6:7], s[34:35], 1
	s_add_u32 s12, s12, s6
	s_addc_u32 s33, s24, s7
	s_mul_i32 s6, s2, s53
	s_mul_hi_u32 s7, s2, s52
	s_mul_i32 s3, s3, s52
	s_mul_i32 s2, s2, s52
	s_load_dwordx16 s[52:67], s[4:5], 0x68
	s_add_i32 s6, s7, s6
	s_add_i32 s3, s6, s3
	s_mul_i32 s6, s0, s70
	s_mul_hi_u32 s7, s0, s14
	s_load_dwordx2 s[24:25], s[4:5], 0x20
	s_mul_i32 s1, s1, s14
	s_ashr_i32 s71, s69, 31
	s_add_i32 s6, s7, s6
	s_add_i32 s1, s6, s1
	s_waitcnt lgkmcnt(0)
	s_mul_i32 s6, s66, s71
	s_mul_hi_u32 s7, s66, s69
	s_add_i32 s6, s7, s6
	s_mul_i32 s7, s67, s69
	s_add_i32 s7, s6, s7
	s_lshl_b64 s[2:3], s[2:3], 1
	s_mul_i32 s0, s0, s14
	s_add_u32 s2, s24, s2
	s_addc_u32 s3, s25, s3
	s_lshl_b64 s[0:1], s[0:1], 1
	s_load_dwordx4 s[44:47], s[4:5], 0xf8
	s_add_u32 s2, s2, s0
	s_mul_i32 s6, s66, s69
	s_addc_u32 s3, s3, s1
	s_lshl_b64 s[0:1], s[6:7], 1
	s_add_u32 s74, s2, s0
	s_addc_u32 s75, s3, s1
	s_load_dword s76, s[4:5], 0x108
	s_load_dword s66, s[4:5], 0x11c
	s_cmp_gt_i32 s13, 0
	s_cselect_b64 s[2:3], -1, 0
	s_waitcnt lgkmcnt(0)
	s_cmp_gt_i32 s46, 0
	s_cselect_b64 s[4:5], -1, 0
	s_cmp_gt_i32 s47, 0
	s_cselect_b64 s[6:7], -1, 0
	;; [unrolled: 2-line block ×3, first 2 shown]
	s_abs_i32 s79, s68
	s_abs_i32 s81, s16
	;; [unrolled: 1-line block ×3, first 2 shown]
	v_cmp_neq_f64_e64 s[0:1], s[28:29], 1.0
	v_cmp_neq_f64_e64 s[34:35], s[30:31], 0
	v_cvt_f32_u32_e32 v1, s81
	v_cvt_f32_u32_e32 v3, s82
	;; [unrolled: 1-line block ×3, first 2 shown]
	s_sub_i32 s15, 0, s82
	v_rcp_iflag_f32_e32 v1, v1
	v_rcp_iflag_f32_e32 v3, v3
	;; [unrolled: 1-line block ×3, first 2 shown]
	s_or_b64 s[34:35], s[0:1], s[34:35]
	s_mul_i32 s0, s56, s71
	s_mul_hi_u32 s1, s56, s69
	v_mul_f32_e32 v1, 0x4f7ffffe, v1
	v_mul_f32_e32 v3, 0x4f7ffffe, v3
	;; [unrolled: 1-line block ×3, first 2 shown]
	s_add_i32 s0, s1, s0
	s_mul_i32 s1, s57, s69
	v_cvt_u32_f32_e32 v1, v1
	v_cvt_u32_f32_e32 v3, v3
	;; [unrolled: 1-line block ×3, first 2 shown]
	s_add_i32 s1, s0, s1
	s_mul_i32 s0, s56, s69
	s_mul_i32 s56, s58, s70
	s_mul_hi_u32 s57, s58, s14
	s_add_i32 s56, s57, s56
	s_mul_i32 s57, s59, s14
	s_add_i32 s57, s56, s57
	s_mul_i32 s56, s58, s14
	s_sub_i32 s14, 0, s81
	s_sub_i32 s58, 0, s79
	v_mul_lo_u32 v2, s14, v1
	v_mul_lo_u32 v4, s15, v3
	;; [unrolled: 1-line block ×3, first 2 shown]
	s_and_b32 s77, s66, 0xffff
	s_ashr_i32 s78, s68, 31
	s_lshl_b64 s[0:1], s[0:1], 1
	s_lshl_b64 s[56:57], s[56:57], 1
	s_ashr_i32 s80, s16, 31
	v_mul_hi_u32 v2, v1, v2
	v_mul_hi_u32 v4, v3, v4
	;; [unrolled: 1-line block ×3, first 2 shown]
	s_add_u32 s0, s0, s56
	s_addc_u32 s1, s1, s57
	s_add_u32 s14, s26, s0
	s_addc_u32 s15, s27, s1
	v_add_u32_e32 v5, v1, v2
	v_mov_b32_e32 v6, 0
	v_add_u32_e32 v7, v3, v4
	v_add_u32_e32 v8, v8, v9
	v_mov_b32_e32 v9, 0x7c00
	v_mov_b32_e32 v10, 0x7e00
	s_movk_i32 s83, 0x1ff
	s_movk_i32 s84, 0xffe
	;; [unrolled: 1-line block ×3, first 2 shown]
	s_mov_b32 s86, 0x8000
	s_mov_b64 s[26:27], 0
	s_lshl_b64 s[54:55], s[54:55], 1
	s_lshl_b64 s[52:53], s[52:53], 1
	;; [unrolled: 1-line block ×4, first 2 shown]
	s_branch .LBB51_3
.LBB51_2:                               ;   in Loop: Header=BB51_3 Depth=1
	v_add_u32_e32 v0, s77, v0
	v_cmp_le_i32_e32 vcc, s11, v0
	s_or_b64 s[26:27], vcc, s[26:27]
	s_andn2_b64 exec, exec, s[26:27]
	s_cbranch_execz .LBB51_22
.LBB51_3:                               ; =>This Loop Header: Depth=1
                                        ;     Child Loop BB51_6 Depth 2
                                        ;       Child Loop BB51_9 Depth 3
                                        ;         Child Loop BB51_12 Depth 4
                                        ;           Child Loop BB51_15 Depth 5
	v_sub_u32_e32 v1, 0, v0
	v_max_i32_e32 v1, v0, v1
	v_mul_hi_u32 v2, v1, v5
	v_ashrrev_i32_e32 v11, 31, v0
	v_xor_b32_e32 v4, s80, v11
	v_mul_hi_u32 v14, v1, v8
	v_mul_lo_u32 v3, v2, s81
	v_add_u32_e32 v12, 1, v2
	v_sub_u32_e32 v3, v1, v3
	v_cmp_le_u32_e32 vcc, s81, v3
	v_cndmask_b32_e32 v2, v2, v12, vcc
	v_subrev_u32_e32 v12, s81, v3
	v_cndmask_b32_e32 v3, v3, v12, vcc
	v_add_u32_e32 v12, 1, v2
	v_cmp_le_u32_e32 vcc, s81, v3
	v_cndmask_b32_e32 v2, v2, v12, vcc
	v_xor_b32_e32 v2, v2, v4
	v_sub_u32_e32 v2, v2, v4
	v_sub_u32_e32 v3, 0, v2
	v_max_i32_e32 v4, v2, v3
	v_mul_hi_u32 v3, v4, v7
	v_mul_lo_u32 v12, v2, s16
	v_ashrrev_i32_e32 v2, 31, v2
	v_mul_lo_u32 v13, v3, s82
	v_sub_u32_e32 v3, v0, v12
	v_sub_u32_e32 v4, v4, v13
	v_subrev_u32_e32 v12, s82, v4
	v_cmp_le_u32_e32 vcc, s82, v4
	v_cndmask_b32_e32 v4, v4, v12, vcc
	v_subrev_u32_e32 v12, s82, v4
	v_cmp_le_u32_e32 vcc, s82, v4
	v_cndmask_b32_e32 v4, v4, v12, vcc
	v_mul_lo_u32 v12, v14, s79
	v_xor_b32_e32 v4, v4, v2
	v_sub_u32_e32 v4, v4, v2
	v_xor_b32_e32 v2, s78, v11
	v_sub_u32_e32 v1, v1, v12
	v_add_u32_e32 v11, 1, v14
	v_cmp_le_u32_e32 vcc, s79, v1
	v_subrev_u32_e32 v12, s79, v1
	v_cndmask_b32_e32 v11, v14, v11, vcc
	v_cndmask_b32_e32 v1, v1, v12, vcc
	v_add_u32_e32 v12, 1, v11
	v_cmp_le_u32_e32 vcc, s79, v1
	v_cndmask_b32_e32 v1, v11, v12, vcc
	v_xor_b32_e32 v1, v1, v2
	s_andn2_b64 vcc, exec, s[2:3]
	v_sub_u32_e32 v11, v1, v2
	s_cbranch_vccnz .LBB51_17
; %bb.4:                                ;   in Loop: Header=BB51_3 Depth=1
	v_mul_lo_u32 v1, v11, s17
	v_mul_lo_u32 v2, v4, s18
	v_mul_lo_u32 v14, v3, s19
	s_mov_b32 s87, 0
	v_subrev_u32_e32 v12, s23, v1
	v_subrev_u32_e32 v13, s44, v2
	v_mov_b32_e32 v1, 0
	v_subrev_u32_e32 v14, s45, v14
	v_mov_b32_e32 v2, 0
	s_mov_b64 s[56:57], s[14:15]
	s_branch .LBB51_6
.LBB51_5:                               ;   in Loop: Header=BB51_6 Depth=2
	s_add_i32 s87, s87, 1
	s_add_u32 s56, s56, s54
	s_addc_u32 s57, s57, s55
	s_cmp_eq_u32 s87, s13
	s_cbranch_scc1 .LBB51_18
.LBB51_6:                               ;   Parent Loop BB51_3 Depth=1
                                        ; =>  This Loop Header: Depth=2
                                        ;       Child Loop BB51_9 Depth 3
                                        ;         Child Loop BB51_12 Depth 4
                                        ;           Child Loop BB51_15 Depth 5
	s_andn2_b64 vcc, exec, s[4:5]
	s_cbranch_vccnz .LBB51_5
; %bb.7:                                ;   in Loop: Header=BB51_6 Depth=2
	s_mul_i32 s0, s43, s87
	s_mul_hi_u32 s1, s42, s87
	s_add_i32 s1, s1, s0
	s_mul_i32 s0, s42, s87
	s_lshl_b64 s[0:1], s[0:1], 1
	s_add_u32 s88, s12, s0
	s_addc_u32 s89, s33, s1
	s_mov_b32 s90, 0
	s_mov_b64 s[58:59], s[56:57]
	s_branch .LBB51_9
.LBB51_8:                               ;   in Loop: Header=BB51_9 Depth=3
	s_add_i32 s90, s90, 1
	s_add_u32 s58, s58, s52
	s_addc_u32 s59, s59, s53
	s_cmp_eq_u32 s90, s46
	s_cbranch_scc1 .LBB51_5
.LBB51_9:                               ;   Parent Loop BB51_3 Depth=1
                                        ;     Parent Loop BB51_6 Depth=2
                                        ; =>    This Loop Header: Depth=3
                                        ;         Child Loop BB51_12 Depth 4
                                        ;           Child Loop BB51_15 Depth 5
	s_andn2_b64 vcc, exec, s[6:7]
	s_cbranch_vccnz .LBB51_8
; %bb.10:                               ;   in Loop: Header=BB51_9 Depth=3
	s_mul_i32 s0, s90, s20
	v_add_u32_e32 v18, s0, v12
	v_mad_u64_u32 v[15:16], s[0:1], s40, v18, 0
	v_cmp_gt_i32_e32 vcc, 0, v18
	s_mov_b32 s91, 0
	v_mad_u64_u32 v[16:17], s[0:1], s41, v18, v[16:17]
	v_cmp_le_i32_e64 s[0:1], s8, v18
	s_or_b64 s[66:67], vcc, s[0:1]
	v_lshlrev_b64 v[15:16], 1, v[15:16]
	v_mov_b32_e32 v17, s89
	v_add_co_u32_e32 v15, vcc, s88, v15
	v_addc_co_u32_e32 v16, vcc, v17, v16, vcc
	s_mov_b64 s[68:69], s[58:59]
	s_branch .LBB51_12
.LBB51_11:                              ;   in Loop: Header=BB51_12 Depth=4
	s_add_i32 s91, s91, 1
	s_add_u32 s68, s68, s50
	s_addc_u32 s69, s69, s51
	s_cmp_eq_u32 s91, s47
	s_cbranch_scc1 .LBB51_8
.LBB51_12:                              ;   Parent Loop BB51_3 Depth=1
                                        ;     Parent Loop BB51_6 Depth=2
                                        ;       Parent Loop BB51_9 Depth=3
                                        ; =>      This Loop Header: Depth=4
                                        ;           Child Loop BB51_15 Depth 5
	s_andn2_b64 vcc, exec, s[24:25]
	s_cbranch_vccnz .LBB51_11
; %bb.13:                               ;   in Loop: Header=BB51_12 Depth=4
	s_mul_i32 s0, s91, s21
	v_add_u32_e32 v20, s0, v13
	v_mad_u64_u32 v[17:18], s[0:1], s38, v20, 0
	v_cmp_gt_i32_e32 vcc, 0, v20
	s_mov_b64 s[72:73], s[68:69]
	v_mad_u64_u32 v[18:19], s[0:1], s39, v20, v[18:19]
	v_cmp_le_i32_e64 s[0:1], s9, v20
	s_or_b64 s[0:1], vcc, s[0:1]
	v_lshlrev_b64 v[17:18], 1, v[17:18]
	s_or_b64 s[70:71], s[66:67], s[0:1]
	v_add_co_u32_e32 v17, vcc, v15, v17
	v_addc_co_u32_e32 v18, vcc, v16, v18, vcc
	v_mov_b32_e32 v19, v14
	s_mov_b32 s92, s76
	s_branch .LBB51_15
.LBB51_14:                              ;   in Loop: Header=BB51_15 Depth=5
	s_or_b64 exec, exec, s[0:1]
	s_add_i32 s92, s92, -1
	s_add_u32 s72, s72, s48
	s_addc_u32 s73, s73, s49
	s_cmp_eq_u32 s92, 0
	v_add_u32_e32 v19, s22, v19
	s_cbranch_scc1 .LBB51_11
.LBB51_15:                              ;   Parent Loop BB51_3 Depth=1
                                        ;     Parent Loop BB51_6 Depth=2
                                        ;       Parent Loop BB51_9 Depth=3
                                        ;         Parent Loop BB51_12 Depth=4
                                        ; =>        This Inner Loop Header: Depth=5
	v_cmp_gt_i32_e32 vcc, 0, v19
	v_cmp_le_i32_e64 s[0:1], s10, v19
	s_or_b64 s[0:1], vcc, s[0:1]
	s_nor_b64 s[94:95], s[70:71], s[0:1]
	s_and_saveexec_b64 s[0:1], s[94:95]
	s_cbranch_execz .LBB51_14
; %bb.16:                               ;   in Loop: Header=BB51_15 Depth=5
	v_mad_u64_u32 v[20:21], s[94:95], s36, v19, 0
	v_mad_u64_u32 v[21:22], s[94:95], s37, v19, v[21:22]
	v_lshlrev_b64 v[20:21], 1, v[20:21]
	v_add_co_u32_e32 v20, vcc, v17, v20
	v_addc_co_u32_e32 v21, vcc, v18, v21, vcc
	global_load_ushort v20, v[20:21], off
	s_nop 0
	global_load_ushort v21, v6, s[72:73]
	s_waitcnt vmcnt(1)
	v_cvt_f32_f16_e32 v20, v20
	s_waitcnt vmcnt(0)
	v_cvt_f32_f16_e32 v22, v21
	v_cvt_f64_f32_e32 v[20:21], v20
	v_cvt_f64_f32_e32 v[22:23], v22
	v_fma_f64 v[1:2], v[20:21], v[22:23], v[1:2]
	s_branch .LBB51_14
.LBB51_17:                              ;   in Loop: Header=BB51_3 Depth=1
	v_mov_b32_e32 v1, 0
	v_mov_b32_e32 v2, 0
.LBB51_18:                              ;   in Loop: Header=BB51_3 Depth=1
	v_ashrrev_i32_e32 v12, 31, v3
	v_mul_lo_u32 v14, s61, v3
	v_mul_lo_u32 v15, s60, v12
	v_mad_u64_u32 v[12:13], s[0:1], s60, v3, 0
	v_ashrrev_i32_e32 v3, 31, v4
	v_mul_lo_u32 v3, s62, v3
	v_add3_u32 v13, v13, v15, v14
	v_mad_u64_u32 v[12:13], s[0:1], s62, v4, v[12:13]
	v_mul_lo_u32 v4, s63, v4
	v_ashrrev_i32_e32 v14, 31, v11
	s_and_b64 vcc, exec, s[34:35]
	v_add3_u32 v13, v4, v13, v3
	v_mad_u64_u32 v[3:4], s[0:1], s64, v11, v[12:13]
	v_mul_lo_u32 v11, s65, v11
	v_mul_lo_u32 v12, s64, v14
	s_mov_b64 s[0:1], -1
	v_add3_u32 v4, v11, v4, v12
	v_lshlrev_b64 v[3:4], 1, v[3:4]
	s_cbranch_vccz .LBB51_20
; %bb.19:                               ;   in Loop: Header=BB51_3 Depth=1
	v_mov_b32_e32 v12, s75
	v_add_co_u32_e32 v11, vcc, s74, v3
	v_addc_co_u32_e32 v12, vcc, v12, v4, vcc
	global_load_ushort v13, v[11:12], off
	s_mov_b64 s[0:1], 0
	s_waitcnt vmcnt(0)
	v_cvt_f32_f16_e32 v13, v13
	v_cvt_f64_f32_e32 v[13:14], v13
	v_mul_f64 v[13:14], s[30:31], v[13:14]
	v_fma_f64 v[13:14], s[28:29], v[1:2], v[13:14]
	v_and_or_b32 v13, v14, s83, v13
	v_cmp_ne_u32_e32 vcc, 0, v13
	v_lshrrev_b32_e32 v15, 8, v14
	v_bfe_u32 v16, v14, 20, 11
	v_cndmask_b32_e64 v13, 0, 1, vcc
	v_sub_u32_e32 v17, 0x3f1, v16
	v_and_or_b32 v13, v15, s84, v13
	v_med3_i32 v15, v17, 0, 13
	v_or_b32_e32 v17, 0x1000, v13
	v_lshrrev_b32_e32 v19, v15, v17
	v_add_u32_e32 v16, 0xfffffc10, v16
	v_cmp_ne_u32_e32 vcc, 0, v13
	v_lshlrev_b32_e32 v15, v15, v19
	v_lshl_or_b32 v18, v16, 12, v13
	v_cndmask_b32_e32 v13, v9, v10, vcc
	v_cmp_ne_u32_e32 vcc, v15, v17
	v_cndmask_b32_e64 v15, 0, 1, vcc
	v_or_b32_e32 v15, v19, v15
	v_cmp_gt_i32_e32 vcc, 1, v16
	v_cndmask_b32_e32 v15, v18, v15, vcc
	v_and_b32_e32 v17, 7, v15
	v_cmp_lt_i32_e32 vcc, 5, v17
	v_cndmask_b32_e64 v18, 0, 1, vcc
	v_cmp_eq_u32_e32 vcc, 3, v17
	v_cndmask_b32_e64 v17, 0, 1, vcc
	v_lshrrev_b32_e32 v15, 2, v15
	v_or_b32_e32 v17, v17, v18
	v_add_u32_e32 v15, v15, v17
	v_cmp_gt_i32_e32 vcc, 31, v16
	v_cndmask_b32_e32 v15, v9, v15, vcc
	v_cmp_eq_u32_e32 vcc, s85, v16
	v_lshrrev_b32_e32 v14, 16, v14
	v_cndmask_b32_e32 v13, v15, v13, vcc
	v_and_or_b32 v13, v14, s86, v13
	global_store_short v[11:12], v13, off
.LBB51_20:                              ;   in Loop: Header=BB51_3 Depth=1
	s_andn2_b64 vcc, exec, s[0:1]
	s_cbranch_vccnz .LBB51_2
; %bb.21:                               ;   in Loop: Header=BB51_3 Depth=1
	v_and_or_b32 v1, v2, s83, v1
	v_cmp_ne_u32_e32 vcc, 0, v1
	v_cndmask_b32_e64 v1, 0, 1, vcc
	v_lshrrev_b32_e32 v11, 8, v2
	v_bfe_u32 v12, v2, 20, 11
	v_and_or_b32 v1, v11, s84, v1
	v_sub_u32_e32 v13, 0x3f1, v12
	v_or_b32_e32 v11, 0x1000, v1
	v_med3_i32 v13, v13, 0, 13
	v_lshrrev_b32_e32 v14, v13, v11
	v_lshlrev_b32_e32 v13, v13, v14
	v_cmp_ne_u32_e32 vcc, v13, v11
	v_cndmask_b32_e64 v11, 0, 1, vcc
	v_add_u32_e32 v12, 0xfffffc10, v12
	v_or_b32_e32 v11, v14, v11
	v_lshl_or_b32 v13, v12, 12, v1
	v_cmp_gt_i32_e32 vcc, 1, v12
	v_cndmask_b32_e32 v11, v13, v11, vcc
	v_and_b32_e32 v13, 7, v11
	v_cmp_lt_i32_e32 vcc, 5, v13
	v_cndmask_b32_e64 v14, 0, 1, vcc
	v_cmp_eq_u32_e32 vcc, 3, v13
	v_cndmask_b32_e64 v13, 0, 1, vcc
	v_or_b32_e32 v13, v13, v14
	v_lshrrev_b32_e32 v11, 2, v11
	v_add_u32_e32 v11, v11, v13
	v_cmp_gt_i32_e32 vcc, 31, v12
	v_cndmask_b32_e32 v11, v9, v11, vcc
	v_cmp_ne_u32_e32 vcc, 0, v1
	v_cndmask_b32_e32 v1, v9, v10, vcc
	v_cmp_eq_u32_e32 vcc, s85, v12
	v_cndmask_b32_e32 v1, v11, v1, vcc
	v_lshrrev_b32_e32 v2, 16, v2
	v_and_or_b32 v11, v2, s86, v1
	v_mov_b32_e32 v2, s75
	v_add_co_u32_e32 v1, vcc, s74, v3
	v_addc_co_u32_e32 v2, vcc, v2, v4, vcc
	global_store_short v[1:2], v11, off
	s_branch .LBB51_2
.LBB51_22:
	s_endpgm
	.section	.rodata,"a",@progbits
	.p2align	6, 0x0
	.amdhsa_kernel naive_conv_ab_nonpacked_fwd_ncdhw_half_double_half
		.amdhsa_group_segment_fixed_size 0
		.amdhsa_private_segment_fixed_size 0
		.amdhsa_kernarg_size 528
		.amdhsa_user_sgpr_count 6
		.amdhsa_user_sgpr_private_segment_buffer 1
		.amdhsa_user_sgpr_dispatch_ptr 0
		.amdhsa_user_sgpr_queue_ptr 0
		.amdhsa_user_sgpr_kernarg_segment_ptr 1
		.amdhsa_user_sgpr_dispatch_id 0
		.amdhsa_user_sgpr_flat_scratch_init 0
		.amdhsa_user_sgpr_private_segment_size 0
		.amdhsa_uses_dynamic_stack 0
		.amdhsa_system_sgpr_private_segment_wavefront_offset 0
		.amdhsa_system_sgpr_workgroup_id_x 1
		.amdhsa_system_sgpr_workgroup_id_y 0
		.amdhsa_system_sgpr_workgroup_id_z 0
		.amdhsa_system_sgpr_workgroup_info 0
		.amdhsa_system_vgpr_workitem_id 0
		.amdhsa_next_free_vgpr 24
		.amdhsa_next_free_sgpr 96
		.amdhsa_reserve_vcc 1
		.amdhsa_reserve_flat_scratch 0
		.amdhsa_float_round_mode_32 0
		.amdhsa_float_round_mode_16_64 0
		.amdhsa_float_denorm_mode_32 3
		.amdhsa_float_denorm_mode_16_64 3
		.amdhsa_dx10_clamp 1
		.amdhsa_ieee_mode 1
		.amdhsa_fp16_overflow 0
		.amdhsa_exception_fp_ieee_invalid_op 0
		.amdhsa_exception_fp_denorm_src 0
		.amdhsa_exception_fp_ieee_div_zero 0
		.amdhsa_exception_fp_ieee_overflow 0
		.amdhsa_exception_fp_ieee_underflow 0
		.amdhsa_exception_fp_ieee_inexact 0
		.amdhsa_exception_int_div_zero 0
	.end_amdhsa_kernel
	.text
.Lfunc_end51:
	.size	naive_conv_ab_nonpacked_fwd_ncdhw_half_double_half, .Lfunc_end51-naive_conv_ab_nonpacked_fwd_ncdhw_half_double_half
                                        ; -- End function
	.set naive_conv_ab_nonpacked_fwd_ncdhw_half_double_half.num_vgpr, 24
	.set naive_conv_ab_nonpacked_fwd_ncdhw_half_double_half.num_agpr, 0
	.set naive_conv_ab_nonpacked_fwd_ncdhw_half_double_half.numbered_sgpr, 96
	.set naive_conv_ab_nonpacked_fwd_ncdhw_half_double_half.num_named_barrier, 0
	.set naive_conv_ab_nonpacked_fwd_ncdhw_half_double_half.private_seg_size, 0
	.set naive_conv_ab_nonpacked_fwd_ncdhw_half_double_half.uses_vcc, 1
	.set naive_conv_ab_nonpacked_fwd_ncdhw_half_double_half.uses_flat_scratch, 0
	.set naive_conv_ab_nonpacked_fwd_ncdhw_half_double_half.has_dyn_sized_stack, 0
	.set naive_conv_ab_nonpacked_fwd_ncdhw_half_double_half.has_recursion, 0
	.set naive_conv_ab_nonpacked_fwd_ncdhw_half_double_half.has_indirect_call, 0
	.section	.AMDGPU.csdata,"",@progbits
; Kernel info:
; codeLenInByte = 2296
; TotalNumSgprs: 100
; NumVgprs: 24
; ScratchSize: 0
; MemoryBound: 0
; FloatMode: 240
; IeeeMode: 1
; LDSByteSize: 0 bytes/workgroup (compile time only)
; SGPRBlocks: 12
; VGPRBlocks: 5
; NumSGPRsForWavesPerEU: 100
; NumVGPRsForWavesPerEU: 24
; Occupancy: 8
; WaveLimiterHint : 1
; COMPUTE_PGM_RSRC2:SCRATCH_EN: 0
; COMPUTE_PGM_RSRC2:USER_SGPR: 6
; COMPUTE_PGM_RSRC2:TRAP_HANDLER: 0
; COMPUTE_PGM_RSRC2:TGID_X_EN: 1
; COMPUTE_PGM_RSRC2:TGID_Y_EN: 0
; COMPUTE_PGM_RSRC2:TGID_Z_EN: 0
; COMPUTE_PGM_RSRC2:TIDIG_COMP_CNT: 0
	.text
	.protected	naive_conv_ab_packed_fwd_ncdhw_ushort_double_ushort ; -- Begin function naive_conv_ab_packed_fwd_ncdhw_ushort_double_ushort
	.globl	naive_conv_ab_packed_fwd_ncdhw_ushort_double_ushort
	.p2align	8
	.type	naive_conv_ab_packed_fwd_ncdhw_ushort_double_ushort,@function
naive_conv_ab_packed_fwd_ncdhw_ushort_double_ushort: ; @naive_conv_ab_packed_fwd_ncdhw_ushort_double_ushort
; %bb.0:
	s_load_dwordx16 s[8:23], s[4:5], 0xb8
	s_abs_i32 s7, s6
	s_waitcnt lgkmcnt(0)
	s_abs_i32 s1, s12
	v_cvt_f32_u32_e32 v1, s1
	s_sub_i32 s2, 0, s1
	s_mul_i32 s0, s12, s11
	s_mul_i32 s42, s16, s15
	v_rcp_iflag_f32_e32 v1, v1
	v_mul_f32_e32 v1, 0x4f7ffffe, v1
	v_cvt_u32_f32_e32 v1, v1
	v_readfirstlane_b32 s3, v1
	s_mul_i32 s2, s2, s3
	s_mul_hi_u32 s2, s3, s2
	s_add_i32 s3, s3, s2
	s_mul_hi_u32 s2, s7, s3
	s_mul_i32 s3, s2, s1
	s_sub_i32 s3, s7, s3
	s_add_i32 s24, s2, 1
	s_sub_i32 s25, s3, s1
	s_cmp_ge_u32 s3, s1
	s_cselect_b32 s2, s24, s2
	s_cselect_b32 s3, s25, s3
	s_add_i32 s24, s2, 1
	s_cmp_ge_u32 s3, s1
	s_cselect_b32 s1, s24, s2
	s_abs_i32 s34, s11
	s_abs_i32 s33, s0
	v_cvt_f32_u32_e32 v1, s34
	v_cvt_f32_u32_e32 v2, s33
	s_mul_i32 s11, s42, s14
	v_cmp_gt_i32_e32 vcc, s11, v0
	v_rcp_iflag_f32_e32 v1, v1
	v_rcp_iflag_f32_e32 v2, v2
	v_mul_f32_e32 v1, 0x4f7ffffe, v1
	v_mul_f32_e32 v2, 0x4f7ffffe, v2
	v_cvt_u32_f32_e32 v1, v1
	v_cvt_u32_f32_e32 v2, v2
	v_readfirstlane_b32 s3, v1
	v_readfirstlane_b32 s2, v2
	s_and_saveexec_b64 s[24:25], vcc
	s_cbranch_execz .LBB52_22
; %bb.1:
	s_ashr_i32 s35, s6, 31
	s_ashr_i32 s36, s12, 31
	s_xor_b32 s36, s35, s36
	s_xor_b32 s1, s1, s36
	s_sub_i32 s40, s1, s36
	s_sub_i32 s1, 0, s34
	s_mul_i32 s1, s1, s3
	s_mul_hi_u32 s1, s3, s1
	s_ashr_i32 s45, s0, 31
	s_sub_i32 s0, 0, s33
	s_abs_i32 s43, s40
	s_add_i32 s3, s3, s1
	s_mul_i32 s0, s0, s2
	s_mul_hi_u32 s44, s43, s3
	s_mul_hi_u32 s0, s2, s0
	s_add_i32 s0, s2, s0
	s_mul_i32 s44, s44, s34
	s_load_dwordx8 s[24:31], s[4:5], 0x0
	s_ashr_i32 s41, s40, 31
	s_load_dwordx2 s[2:3], s[4:5], 0x108
	s_mul_hi_u32 s46, s7, s0
	s_load_dwordx2 s[0:1], s[4:5], 0x20
	s_load_dwordx4 s[36:39], s[4:5], 0xf8
	s_load_dword s47, s[4:5], 0x11c
	s_mul_i32 s40, s40, s12
	s_sub_i32 s4, s43, s44
	s_sub_i32 s6, s6, s40
	;; [unrolled: 1-line block ×3, first 2 shown]
	s_cmp_ge_u32 s4, s34
	s_cselect_b32 s4, s5, s4
	s_sub_i32 s5, s4, s34
	s_cmp_ge_u32 s4, s34
	s_cselect_b32 s4, s5, s4
	s_mul_i32 s5, s46, s33
	s_xor_b32 s4, s4, s41
	s_sub_i32 s5, s7, s5
	s_sub_i32 s34, s4, s41
	s_xor_b32 s4, s35, s45
	s_add_i32 s7, s46, 1
	s_sub_i32 s35, s5, s33
	s_cmp_ge_u32 s5, s33
	s_cselect_b32 s7, s7, s46
	s_cselect_b32 s5, s35, s5
	s_add_i32 s35, s7, 1
	s_cmp_ge_u32 s5, s33
	s_cselect_b32 s5, s35, s7
	s_xor_b32 s5, s5, s4
	s_waitcnt lgkmcnt(0)
	s_mul_i32 s48, s3, s12
	s_mul_i32 s3, s3, s13
	s_sub_i32 s7, s5, s4
	s_mul_hi_i32 s4, s34, s3
	s_mul_i32 s3, s34, s3
	s_ashr_i32 s33, s8, 31
	s_ashr_i32 s56, s9, 31
	;; [unrolled: 1-line block ×4, first 2 shown]
	s_mul_i32 s35, s7, s13
	s_mul_hi_i32 s5, s7, s13
	s_add_u32 s3, s35, s3
	s_mul_i32 s35, s9, s8
	s_addc_u32 s4, s5, s4
	s_mul_hi_i32 s5, s9, s8
	s_mul_i32 s40, s35, s57
	s_mul_hi_u32 s41, s35, s10
	s_add_i32 s40, s41, s40
	s_mul_i32 s5, s5, s10
	s_mul_i32 s35, s35, s10
	s_add_i32 s5, s40, s5
	s_mul_i32 s4, s35, s4
	s_mul_hi_u32 s40, s35, s3
	s_add_i32 s4, s40, s4
	s_mul_i32 s5, s5, s3
	s_add_i32 s5, s4, s5
	s_mul_i32 s4, s35, s3
	s_lshl_b64 s[4:5], s[4:5], 1
	s_add_u32 s58, s24, s4
	s_addc_u32 s59, s25, s5
	s_mul_hi_i32 s4, s7, s12
	s_mul_i32 s7, s7, s12
	s_ashr_i32 s12, s38, 31
	s_ashr_i32 s3, s2, 31
	;; [unrolled: 1-line block ×3, first 2 shown]
	s_add_u32 s46, s7, s6
	s_addc_u32 s49, s4, s5
	s_mul_hi_i32 s4, s34, s48
	s_mul_i32 s34, s34, s48
	s_ashr_i32 s60, s16, 31
	s_mul_i32 s7, s15, s14
	s_add_u32 s6, s46, s34
	s_mul_hi_i32 s5, s15, s14
	s_mul_i32 s14, s7, s60
	s_mul_hi_u32 s24, s7, s16
	s_addc_u32 s4, s49, s4
	s_add_i32 s14, s24, s14
	s_mul_i32 s5, s5, s16
	s_mul_i32 s7, s7, s16
	s_add_i32 s5, s14, s5
	s_mul_i32 s4, s7, s4
	s_mul_hi_u32 s14, s7, s6
	s_add_i32 s4, s14, s4
	s_mul_i32 s5, s5, s6
	s_add_i32 s5, s4, s5
	s_mul_i32 s4, s7, s6
	s_lshl_b64 s[4:5], s[4:5], 1
	s_add_u32 s61, s0, s4
	s_addc_u32 s62, s1, s5
	s_cmp_gt_i32 s13, 0
	v_cmp_neq_f64_e64 s[0:1], s[28:29], 1.0
	v_cmp_neq_f64_e64 s[40:41], s[30:31], 0
	s_cselect_b64 s[4:5], -1, 0
	s_cmp_gt_i32 s38, 0
	s_cselect_b64 s[6:7], -1, 0
	s_cmp_gt_i32 s39, 0
	;; [unrolled: 2-line block ×3, first 2 shown]
	s_cselect_b64 s[34:35], -1, 0
	s_abs_i32 s65, s15
	s_abs_i32 s64, s16
	;; [unrolled: 1-line block ×3, first 2 shown]
	v_cvt_f32_u32_e32 v2, s65
	v_cvt_f32_u32_e32 v1, s64
	;; [unrolled: 1-line block ×3, first 2 shown]
	s_or_b64 s[40:41], s[0:1], s[40:41]
	s_mul_i32 s0, s2, s39
	v_rcp_iflag_f32_e32 v2, v2
	s_mul_hi_i32 s1, s2, s39
	s_mul_i32 s12, s0, s12
	s_mul_hi_u32 s44, s0, s38
	v_rcp_iflag_f32_e32 v1, v1
	v_rcp_iflag_f32_e32 v3, v3
	s_add_i32 s12, s44, s12
	s_mul_i32 s44, s1, s38
	s_add_i32 s45, s12, s44
	s_mul_i32 s44, s0, s38
	s_and_b32 s63, s47, 0xffff
	s_mul_i32 s12, s44, s49
	s_mul_hi_u32 s47, s44, s46
	v_mul_f32_e32 v2, 0x4f7ffffe, v2
	s_add_i32 s12, s47, s12
	s_mul_i32 s47, s45, s46
	s_mul_i32 s46, s44, s46
	v_mul_f32_e32 v1, 0x4f7ffffe, v1
	v_cvt_u32_f32_e32 v5, v2
	v_mul_f32_e32 v2, 0x4f7ffffe, v3
	s_add_i32 s12, s12, s47
	s_mul_i32 s43, s46, s43
	s_mul_hi_u32 s47, s46, s13
	v_cvt_u32_f32_e32 v1, v1
	v_cvt_u32_f32_e32 v3, v2
	s_add_i32 s43, s47, s43
	s_mul_i32 s12, s12, s13
	s_add_i32 s47, s43, s12
	s_mul_i32 s46, s46, s13
	s_sub_i32 s14, 0, s64
	s_ashr_i32 s66, s42, 31
	s_lshl_b64 s[42:43], s[46:47], 1
	s_sub_i32 s12, 0, s65
	s_sub_i32 s46, 0, s67
	v_mul_lo_u32 v4, s14, v1
	v_mul_lo_u32 v2, s12, v5
	;; [unrolled: 1-line block ×3, first 2 shown]
	s_add_u32 s26, s26, s42
	v_mul_hi_u32 v4, v1, v4
	v_mul_hi_u32 v7, v5, v2
	;; [unrolled: 1-line block ×3, first 2 shown]
	s_addc_u32 s27, s27, s43
	s_mov_b32 s68, s8
	s_mov_b32 s69, s9
	;; [unrolled: 1-line block ×4, first 2 shown]
	v_add_u32_e32 v9, v1, v4
	v_mov_b32_e32 v2, 0
	v_add_u32_e32 v10, v5, v7
	v_add_u32_e32 v11, v3, v6
	s_lshl_b64 s[8:9], s[44:45], 1
	s_lshl_b64 s[12:13], s[0:1], 1
	s_mov_b32 s72, 0x7f800000
	s_mov_b64 s[14:15], 0
	s_lshl_b64 s[42:43], s[2:3], 1
	s_branch .LBB52_3
.LBB52_2:                               ;   in Loop: Header=BB52_3 Depth=1
	v_add_u32_e32 v0, s63, v0
	v_cmp_le_i32_e32 vcc, s11, v0
	s_or_b64 s[14:15], vcc, s[14:15]
	s_andn2_b64 exec, exec, s[14:15]
	s_cbranch_execz .LBB52_22
.LBB52_3:                               ; =>This Loop Header: Depth=1
                                        ;     Child Loop BB52_6 Depth 2
                                        ;       Child Loop BB52_9 Depth 3
                                        ;         Child Loop BB52_12 Depth 4
                                        ;           Child Loop BB52_15 Depth 5
	v_sub_u32_e32 v1, 0, v0
	v_max_i32_e32 v1, v0, v1
	v_mul_hi_u32 v3, v1, v9
	v_ashrrev_i32_e32 v7, 31, v0
	v_xor_b32_e32 v5, s60, v7
	v_mul_hi_u32 v12, v1, v11
	v_mul_lo_u32 v4, v3, s64
	v_add_u32_e32 v6, 1, v3
	v_sub_u32_e32 v4, v1, v4
	v_cmp_le_u32_e32 vcc, s64, v4
	v_cndmask_b32_e32 v3, v3, v6, vcc
	v_subrev_u32_e32 v6, s64, v4
	v_cndmask_b32_e32 v4, v4, v6, vcc
	v_add_u32_e32 v6, 1, v3
	v_cmp_le_u32_e32 vcc, s64, v4
	v_cndmask_b32_e32 v3, v3, v6, vcc
	v_xor_b32_e32 v3, v3, v5
	v_sub_u32_e32 v3, v3, v5
	v_sub_u32_e32 v4, 0, v3
	v_max_i32_e32 v4, v3, v4
	v_mul_hi_u32 v5, v4, v10
	v_mul_lo_u32 v6, v3, s16
	v_ashrrev_i32_e32 v3, 31, v3
	v_mul_lo_u32 v8, v5, s65
	v_sub_u32_e32 v5, v0, v6
	v_sub_u32_e32 v4, v4, v8
	v_subrev_u32_e32 v6, s65, v4
	v_cmp_le_u32_e32 vcc, s65, v4
	v_mul_lo_u32 v8, v12, s67
	v_cndmask_b32_e32 v4, v4, v6, vcc
	v_subrev_u32_e32 v6, s65, v4
	v_cmp_le_u32_e32 vcc, s65, v4
	v_cndmask_b32_e32 v4, v4, v6, vcc
	v_xor_b32_e32 v4, v4, v3
	v_sub_u32_e32 v1, v1, v8
	v_sub_u32_e32 v6, v4, v3
	v_xor_b32_e32 v3, s66, v7
	v_add_u32_e32 v4, 1, v12
	v_cmp_le_u32_e32 vcc, s67, v1
	v_subrev_u32_e32 v7, s67, v1
	v_cndmask_b32_e32 v4, v12, v4, vcc
	v_cndmask_b32_e32 v1, v1, v7, vcc
	v_add_u32_e32 v7, 1, v4
	v_cmp_le_u32_e32 vcc, s67, v1
	v_cndmask_b32_e32 v1, v4, v7, vcc
	v_xor_b32_e32 v1, v1, v3
	s_andn2_b64 vcc, exec, s[4:5]
	v_sub_u32_e32 v12, v1, v3
	s_cbranch_vccnz .LBB52_17
; %bb.4:                                ;   in Loop: Header=BB52_3 Depth=1
	v_mul_lo_u32 v3, v6, s18
	v_mul_lo_u32 v4, v5, s19
	;; [unrolled: 1-line block ×3, first 2 shown]
	s_mov_b32 s3, 0
	v_subrev_u32_e32 v14, s36, v3
	v_subrev_u32_e32 v15, s37, v4
	v_mov_b32_e32 v3, 0
	v_subrev_u32_e32 v13, s23, v1
	v_mov_b32_e32 v4, 0
	s_mov_b64 s[44:45], s[26:27]
	s_branch .LBB52_6
.LBB52_5:                               ;   in Loop: Header=BB52_6 Depth=2
	s_add_i32 s3, s3, 1
	s_add_u32 s44, s44, s8
	s_addc_u32 s45, s45, s9
	s_cmp_eq_u32 s3, s70
	s_cbranch_scc1 .LBB52_18
.LBB52_6:                               ;   Parent Loop BB52_3 Depth=1
                                        ; =>  This Loop Header: Depth=2
                                        ;       Child Loop BB52_9 Depth 3
                                        ;         Child Loop BB52_12 Depth 4
                                        ;           Child Loop BB52_15 Depth 5
	s_andn2_b64 vcc, exec, s[6:7]
	s_cbranch_vccnz .LBB52_5
; %bb.7:                                ;   in Loop: Header=BB52_6 Depth=2
	s_mul_i32 s0, s3, s33
	s_mul_hi_u32 s1, s3, s68
	s_add_i32 s73, s1, s0
	s_mul_i32 s74, s3, s68
	s_mov_b32 s75, 0
	s_mov_b64 s[46:47], s[44:45]
	s_branch .LBB52_9
.LBB52_8:                               ;   in Loop: Header=BB52_9 Depth=3
	s_add_i32 s75, s75, 1
	s_add_u32 s46, s46, s12
	s_addc_u32 s47, s47, s13
	s_cmp_eq_u32 s75, s38
	s_cbranch_scc1 .LBB52_5
.LBB52_9:                               ;   Parent Loop BB52_3 Depth=1
                                        ;     Parent Loop BB52_6 Depth=2
                                        ; =>    This Loop Header: Depth=3
                                        ;         Child Loop BB52_12 Depth 4
                                        ;           Child Loop BB52_15 Depth 5
	s_andn2_b64 vcc, exec, s[24:25]
	s_cbranch_vccnz .LBB52_8
; %bb.10:                               ;   in Loop: Header=BB52_9 Depth=3
	s_mul_i32 s0, s75, s20
	v_add_u32_e32 v1, s0, v13
	v_mov_b32_e32 v7, s73
	v_add_co_u32_e32 v8, vcc, s74, v1
	v_addc_co_u32_e32 v7, vcc, 0, v7, vcc
	v_mul_lo_u32 v16, v7, s69
	v_mul_lo_u32 v17, v8, s56
	v_mad_u64_u32 v[7:8], s[0:1], v8, s69, 0
	v_cmp_gt_i32_e32 vcc, 0, v1
	v_cmp_le_i32_e64 s[0:1], s68, v1
	s_mov_b32 s76, 0
	s_or_b64 s[48:49], vcc, s[0:1]
	v_add3_u32 v8, v8, v17, v16
	s_mov_b64 s[50:51], s[46:47]
	s_branch .LBB52_12
.LBB52_11:                              ;   in Loop: Header=BB52_12 Depth=4
	s_add_i32 s76, s76, 1
	s_add_u32 s50, s50, s42
	s_addc_u32 s51, s51, s43
	s_cmp_eq_u32 s76, s39
	s_cbranch_scc1 .LBB52_8
.LBB52_12:                              ;   Parent Loop BB52_3 Depth=1
                                        ;     Parent Loop BB52_6 Depth=2
                                        ;       Parent Loop BB52_9 Depth=3
                                        ; =>      This Loop Header: Depth=4
                                        ;           Child Loop BB52_15 Depth 5
	s_andn2_b64 vcc, exec, s[34:35]
	s_cbranch_vccnz .LBB52_11
; %bb.13:                               ;   in Loop: Header=BB52_12 Depth=4
	s_mul_i32 s0, s76, s21
	v_add_u32_e32 v1, s0, v14
	v_add_co_u32_e64 v16, s[0:1], v7, v1
	v_addc_co_u32_e64 v17, s[0:1], 0, v8, s[0:1]
	v_mul_lo_u32 v18, v17, s10
	v_mul_lo_u32 v19, v16, s57
	v_mad_u64_u32 v[16:17], s[0:1], v16, s10, 0
	v_cmp_gt_i32_e32 vcc, 0, v1
	v_cmp_le_i32_e64 s[0:1], s69, v1
	v_add3_u32 v17, v17, v19, v18
	v_lshlrev_b64 v[16:17], 1, v[16:17]
	s_or_b64 s[0:1], vcc, s[0:1]
	v_mov_b32_e32 v1, s59
	v_add_co_u32_e32 v16, vcc, s58, v16
	s_or_b64 s[52:53], s[48:49], s[0:1]
	v_addc_co_u32_e32 v17, vcc, v1, v17, vcc
	v_mov_b32_e32 v1, v15
	s_mov_b64 s[54:55], s[50:51]
	s_mov_b32 s77, s2
	s_branch .LBB52_15
.LBB52_14:                              ;   in Loop: Header=BB52_15 Depth=5
	s_or_b64 exec, exec, s[0:1]
	s_add_i32 s77, s77, -1
	s_add_u32 s54, s54, 2
	s_addc_u32 s55, s55, 0
	s_cmp_eq_u32 s77, 0
	v_add_u32_e32 v1, s22, v1
	s_cbranch_scc1 .LBB52_11
.LBB52_15:                              ;   Parent Loop BB52_3 Depth=1
                                        ;     Parent Loop BB52_6 Depth=2
                                        ;       Parent Loop BB52_9 Depth=3
                                        ;         Parent Loop BB52_12 Depth=4
                                        ; =>        This Inner Loop Header: Depth=5
	v_cmp_gt_i32_e32 vcc, 0, v1
	v_cmp_le_i32_e64 s[0:1], s10, v1
	s_or_b64 s[0:1], vcc, s[0:1]
	s_nor_b64 s[78:79], s[52:53], s[0:1]
	s_and_saveexec_b64 s[0:1], s[78:79]
	s_cbranch_execz .LBB52_14
; %bb.16:                               ;   in Loop: Header=BB52_15 Depth=5
	v_lshlrev_b64 v[18:19], 1, v[1:2]
	v_add_co_u32_e32 v18, vcc, v16, v18
	v_addc_co_u32_e32 v19, vcc, v17, v19, vcc
	global_load_ushort v20, v2, s[54:55]
	s_nop 0
	global_load_ushort v18, v[18:19], off
	s_waitcnt vmcnt(1)
	v_lshlrev_b32_e32 v19, 16, v20
	s_waitcnt vmcnt(0)
	v_lshlrev_b32_e32 v20, 16, v18
	v_cvt_f64_f32_e32 v[18:19], v19
	v_cvt_f64_f32_e32 v[20:21], v20
	v_fma_f64 v[3:4], v[20:21], v[18:19], v[3:4]
	s_branch .LBB52_14
.LBB52_17:                              ;   in Loop: Header=BB52_3 Depth=1
	v_mov_b32_e32 v3, 0
	v_mov_b32_e32 v4, 0
.LBB52_18:                              ;   in Loop: Header=BB52_3 Depth=1
	v_ashrrev_i32_e32 v7, 31, v6
	v_mad_i64_i32 v[7:8], s[0:1], v12, s71, v[6:7]
	v_ashrrev_i32_e32 v6, 31, v5
	s_and_b64 vcc, exec, s[40:41]
	v_mad_u64_u32 v[5:6], s[0:1], v7, s16, v[5:6]
	v_mul_lo_u32 v1, v7, s60
	v_mul_lo_u32 v7, v8, s16
	s_mov_b64 s[0:1], -1
	v_add3_u32 v6, v7, v6, v1
	v_lshlrev_b64 v[5:6], 1, v[5:6]
	s_cbranch_vccz .LBB52_20
; %bb.19:                               ;   in Loop: Header=BB52_3 Depth=1
	v_mov_b32_e32 v1, s62
	v_add_co_u32_e32 v7, vcc, s61, v5
	v_addc_co_u32_e32 v8, vcc, v1, v6, vcc
	global_load_ushort v1, v[7:8], off
	s_waitcnt vmcnt(0)
	v_lshlrev_b32_e32 v1, 16, v1
	v_cvt_f64_f32_e32 v[12:13], v1
	v_mul_f64 v[12:13], s[30:31], v[12:13]
	v_fma_f64 v[12:13], s[28:29], v[3:4], v[12:13]
	v_cvt_f32_f64_e32 v1, v[12:13]
	v_and_b32_e32 v12, 0x7f800000, v1
	v_cmp_ne_u32_sdwa s[0:1], v1, v2 src0_sel:WORD_0 src1_sel:DWORD
	v_cmp_eq_u32_e32 vcc, s72, v12
	s_and_b64 s[0:1], vcc, s[0:1]
	v_cndmask_b32_e64 v12, 0, 1, s[0:1]
	v_or_b32_sdwa v1, v1, v12 dst_sel:DWORD dst_unused:UNUSED_PAD src0_sel:WORD_1 src1_sel:DWORD
	global_store_short v[7:8], v1, off
	s_mov_b64 s[0:1], 0
.LBB52_20:                              ;   in Loop: Header=BB52_3 Depth=1
	s_andn2_b64 vcc, exec, s[0:1]
	s_cbranch_vccnz .LBB52_2
; %bb.21:                               ;   in Loop: Header=BB52_3 Depth=1
	v_cvt_f32_f64_e32 v1, v[3:4]
	v_mov_b32_e32 v4, s62
	v_and_b32_e32 v3, 0x7f800000, v1
	v_cmp_ne_u32_sdwa s[0:1], v1, v2 src0_sel:WORD_0 src1_sel:DWORD
	v_cmp_eq_u32_e32 vcc, s72, v3
	s_and_b64 s[0:1], vcc, s[0:1]
	v_cndmask_b32_e64 v3, 0, 1, s[0:1]
	v_or_b32_sdwa v1, v1, v3 dst_sel:DWORD dst_unused:UNUSED_PAD src0_sel:WORD_1 src1_sel:DWORD
	v_add_co_u32_e32 v3, vcc, s61, v5
	v_addc_co_u32_e32 v4, vcc, v4, v6, vcc
	global_store_short v[3:4], v1, off
	s_branch .LBB52_2
.LBB52_22:
	s_endpgm
	.section	.rodata,"a",@progbits
	.p2align	6, 0x0
	.amdhsa_kernel naive_conv_ab_packed_fwd_ncdhw_ushort_double_ushort
		.amdhsa_group_segment_fixed_size 0
		.amdhsa_private_segment_fixed_size 0
		.amdhsa_kernarg_size 528
		.amdhsa_user_sgpr_count 6
		.amdhsa_user_sgpr_private_segment_buffer 1
		.amdhsa_user_sgpr_dispatch_ptr 0
		.amdhsa_user_sgpr_queue_ptr 0
		.amdhsa_user_sgpr_kernarg_segment_ptr 1
		.amdhsa_user_sgpr_dispatch_id 0
		.amdhsa_user_sgpr_flat_scratch_init 0
		.amdhsa_user_sgpr_private_segment_size 0
		.amdhsa_uses_dynamic_stack 0
		.amdhsa_system_sgpr_private_segment_wavefront_offset 0
		.amdhsa_system_sgpr_workgroup_id_x 1
		.amdhsa_system_sgpr_workgroup_id_y 0
		.amdhsa_system_sgpr_workgroup_id_z 0
		.amdhsa_system_sgpr_workgroup_info 0
		.amdhsa_system_vgpr_workitem_id 0
		.amdhsa_next_free_vgpr 22
		.amdhsa_next_free_sgpr 80
		.amdhsa_reserve_vcc 1
		.amdhsa_reserve_flat_scratch 0
		.amdhsa_float_round_mode_32 0
		.amdhsa_float_round_mode_16_64 0
		.amdhsa_float_denorm_mode_32 3
		.amdhsa_float_denorm_mode_16_64 3
		.amdhsa_dx10_clamp 1
		.amdhsa_ieee_mode 1
		.amdhsa_fp16_overflow 0
		.amdhsa_exception_fp_ieee_invalid_op 0
		.amdhsa_exception_fp_denorm_src 0
		.amdhsa_exception_fp_ieee_div_zero 0
		.amdhsa_exception_fp_ieee_overflow 0
		.amdhsa_exception_fp_ieee_underflow 0
		.amdhsa_exception_fp_ieee_inexact 0
		.amdhsa_exception_int_div_zero 0
	.end_amdhsa_kernel
	.text
.Lfunc_end52:
	.size	naive_conv_ab_packed_fwd_ncdhw_ushort_double_ushort, .Lfunc_end52-naive_conv_ab_packed_fwd_ncdhw_ushort_double_ushort
                                        ; -- End function
	.set naive_conv_ab_packed_fwd_ncdhw_ushort_double_ushort.num_vgpr, 22
	.set naive_conv_ab_packed_fwd_ncdhw_ushort_double_ushort.num_agpr, 0
	.set naive_conv_ab_packed_fwd_ncdhw_ushort_double_ushort.numbered_sgpr, 80
	.set naive_conv_ab_packed_fwd_ncdhw_ushort_double_ushort.num_named_barrier, 0
	.set naive_conv_ab_packed_fwd_ncdhw_ushort_double_ushort.private_seg_size, 0
	.set naive_conv_ab_packed_fwd_ncdhw_ushort_double_ushort.uses_vcc, 1
	.set naive_conv_ab_packed_fwd_ncdhw_ushort_double_ushort.uses_flat_scratch, 0
	.set naive_conv_ab_packed_fwd_ncdhw_ushort_double_ushort.has_dyn_sized_stack, 0
	.set naive_conv_ab_packed_fwd_ncdhw_ushort_double_ushort.has_recursion, 0
	.set naive_conv_ab_packed_fwd_ncdhw_ushort_double_ushort.has_indirect_call, 0
	.section	.AMDGPU.csdata,"",@progbits
; Kernel info:
; codeLenInByte = 1972
; TotalNumSgprs: 84
; NumVgprs: 22
; ScratchSize: 0
; MemoryBound: 0
; FloatMode: 240
; IeeeMode: 1
; LDSByteSize: 0 bytes/workgroup (compile time only)
; SGPRBlocks: 10
; VGPRBlocks: 5
; NumSGPRsForWavesPerEU: 84
; NumVGPRsForWavesPerEU: 22
; Occupancy: 9
; WaveLimiterHint : 1
; COMPUTE_PGM_RSRC2:SCRATCH_EN: 0
; COMPUTE_PGM_RSRC2:USER_SGPR: 6
; COMPUTE_PGM_RSRC2:TRAP_HANDLER: 0
; COMPUTE_PGM_RSRC2:TGID_X_EN: 1
; COMPUTE_PGM_RSRC2:TGID_Y_EN: 0
; COMPUTE_PGM_RSRC2:TGID_Z_EN: 0
; COMPUTE_PGM_RSRC2:TIDIG_COMP_CNT: 0
	.text
	.protected	naive_conv_ab_nonpacked_fwd_ncdhw_ushort_double_ushort ; -- Begin function naive_conv_ab_nonpacked_fwd_ncdhw_ushort_double_ushort
	.globl	naive_conv_ab_nonpacked_fwd_ncdhw_ushort_double_ushort
	.p2align	8
	.type	naive_conv_ab_nonpacked_fwd_ncdhw_ushort_double_ushort,@function
naive_conv_ab_nonpacked_fwd_ncdhw_ushort_double_ushort: ; @naive_conv_ab_nonpacked_fwd_ncdhw_ushort_double_ushort
; %bb.0:
	s_load_dwordx16 s[8:23], s[4:5], 0xb8
	s_abs_i32 s7, s6
	s_waitcnt lgkmcnt(0)
	s_abs_i32 s1, s12
	v_cvt_f32_u32_e32 v1, s1
	s_sub_i32 s2, 0, s1
	s_mul_i32 s0, s12, s11
	s_mul_i32 s68, s16, s15
	v_rcp_iflag_f32_e32 v1, v1
	v_mul_f32_e32 v1, 0x4f7ffffe, v1
	v_cvt_u32_f32_e32 v1, v1
	v_readfirstlane_b32 s3, v1
	s_mul_i32 s2, s2, s3
	s_mul_hi_u32 s2, s3, s2
	s_add_i32 s3, s3, s2
	s_mul_hi_u32 s2, s7, s3
	s_mul_i32 s3, s2, s1
	s_sub_i32 s3, s7, s3
	s_add_i32 s24, s2, 1
	s_sub_i32 s25, s3, s1
	s_cmp_ge_u32 s3, s1
	s_cselect_b32 s2, s24, s2
	s_cselect_b32 s3, s25, s3
	s_add_i32 s24, s2, 1
	s_cmp_ge_u32 s3, s1
	s_cselect_b32 s1, s24, s2
	s_abs_i32 s34, s11
	s_abs_i32 s33, s0
	v_cvt_f32_u32_e32 v1, s34
	v_cvt_f32_u32_e32 v2, s33
	s_mul_i32 s11, s68, s14
	v_cmp_gt_i32_e32 vcc, s11, v0
	v_rcp_iflag_f32_e32 v1, v1
	v_rcp_iflag_f32_e32 v2, v2
	v_mul_f32_e32 v1, 0x4f7ffffe, v1
	v_mul_f32_e32 v2, 0x4f7ffffe, v2
	v_cvt_u32_f32_e32 v1, v1
	v_cvt_u32_f32_e32 v2, v2
	v_readfirstlane_b32 s3, v1
	v_readfirstlane_b32 s2, v2
	s_and_saveexec_b64 s[24:25], vcc
	s_cbranch_execz .LBB53_22
; %bb.1:
	s_ashr_i32 s14, s6, 31
	s_ashr_i32 s35, s12, 31
	s_xor_b32 s35, s14, s35
	s_xor_b32 s1, s1, s35
	s_sub_i32 s35, s1, s35
	s_sub_i32 s1, 0, s34
	s_mul_i32 s1, s1, s3
	s_mul_hi_u32 s1, s3, s1
	s_abs_i32 s53, s35
	s_add_i32 s3, s3, s1
	s_mul_hi_u32 s54, s53, s3
	s_ashr_i32 s55, s0, 31
	s_sub_i32 s0, 0, s33
	s_ashr_i32 s52, s35, 31
	s_mul_i32 s0, s0, s2
	s_mul_i32 s35, s35, s12
	;; [unrolled: 1-line block ×3, first 2 shown]
	s_mul_hi_u32 s0, s2, s0
	s_sub_i32 s69, s6, s35
	s_sub_i32 s6, s53, s54
	s_add_i32 s2, s2, s0
	s_sub_i32 s12, s6, s34
	s_cmp_ge_u32 s6, s34
	s_cselect_b32 s6, s12, s6
	s_sub_i32 s12, s6, s34
	s_mul_hi_u32 s56, s7, s2
	s_cmp_ge_u32 s6, s34
	s_cselect_b32 s6, s12, s6
	s_mul_i32 s12, s56, s33
	s_xor_b32 s6, s6, s52
	s_sub_i32 s7, s7, s12
	s_sub_i32 s52, s6, s52
	s_xor_b32 s6, s14, s55
	s_add_i32 s12, s56, 1
	s_sub_i32 s14, s7, s33
	s_cmp_ge_u32 s7, s33
	s_cselect_b32 s12, s12, s56
	s_cselect_b32 s7, s14, s7
	s_add_i32 s14, s12, 1
	s_load_dwordx16 s[36:51], s[4:5], 0x28
	s_load_dwordx4 s[0:3], s[4:5], 0xa8
	s_cmp_ge_u32 s7, s33
	s_cselect_b32 s7, s14, s12
	s_xor_b32 s7, s7, s6
	s_load_dwordx8 s[24:31], s[4:5], 0x0
	s_sub_i32 s14, s7, s6
	s_ashr_i32 s53, s52, 31
	s_waitcnt lgkmcnt(0)
	s_mul_i32 s6, s46, s53
	s_mul_hi_u32 s7, s46, s52
	s_ashr_i32 s70, s14, 31
	s_add_i32 s6, s7, s6
	s_mul_i32 s7, s47, s52
	s_mul_i32 s12, s44, s70
	s_mul_hi_u32 s33, s44, s14
	s_add_i32 s7, s6, s7
	s_mul_i32 s6, s46, s52
	s_add_i32 s12, s33, s12
	s_mul_i32 s33, s45, s14
	s_add_i32 s35, s12, s33
	s_lshl_b64 s[6:7], s[6:7], 1
	s_mul_i32 s34, s44, s14
	s_add_u32 s12, s24, s6
	s_addc_u32 s24, s25, s7
	s_lshl_b64 s[6:7], s[34:35], 1
	s_add_u32 s12, s12, s6
	s_addc_u32 s33, s24, s7
	s_mul_i32 s6, s2, s53
	s_mul_hi_u32 s7, s2, s52
	s_mul_i32 s3, s3, s52
	s_mul_i32 s2, s2, s52
	s_load_dwordx16 s[52:67], s[4:5], 0x68
	s_add_i32 s6, s7, s6
	s_add_i32 s3, s6, s3
	s_mul_i32 s6, s0, s70
	s_mul_hi_u32 s7, s0, s14
	s_load_dwordx2 s[24:25], s[4:5], 0x20
	s_mul_i32 s1, s1, s14
	s_ashr_i32 s71, s69, 31
	s_add_i32 s6, s7, s6
	s_add_i32 s1, s6, s1
	s_waitcnt lgkmcnt(0)
	s_mul_i32 s6, s66, s71
	s_mul_hi_u32 s7, s66, s69
	s_add_i32 s6, s7, s6
	s_mul_i32 s7, s67, s69
	s_add_i32 s7, s6, s7
	s_lshl_b64 s[2:3], s[2:3], 1
	s_mul_i32 s0, s0, s14
	s_add_u32 s2, s24, s2
	s_addc_u32 s3, s25, s3
	s_lshl_b64 s[0:1], s[0:1], 1
	s_load_dwordx4 s[44:47], s[4:5], 0xf8
	s_add_u32 s2, s2, s0
	s_mul_i32 s6, s66, s69
	s_addc_u32 s3, s3, s1
	s_lshl_b64 s[0:1], s[6:7], 1
	s_add_u32 s74, s2, s0
	s_addc_u32 s75, s3, s1
	s_load_dword s76, s[4:5], 0x108
	s_load_dword s66, s[4:5], 0x11c
	s_cmp_gt_i32 s13, 0
	s_cselect_b64 s[2:3], -1, 0
	s_waitcnt lgkmcnt(0)
	s_cmp_gt_i32 s46, 0
	s_cselect_b64 s[4:5], -1, 0
	s_cmp_gt_i32 s47, 0
	s_cselect_b64 s[6:7], -1, 0
	;; [unrolled: 2-line block ×3, first 2 shown]
	s_abs_i32 s79, s68
	s_abs_i32 s81, s16
	s_abs_i32 s82, s15
	v_cmp_neq_f64_e64 s[0:1], s[28:29], 1.0
	v_cmp_neq_f64_e64 s[34:35], s[30:31], 0
	v_cvt_f32_u32_e32 v1, s81
	v_cvt_f32_u32_e32 v3, s82
	;; [unrolled: 1-line block ×3, first 2 shown]
	s_sub_i32 s15, 0, s82
	v_rcp_iflag_f32_e32 v1, v1
	v_rcp_iflag_f32_e32 v3, v3
	;; [unrolled: 1-line block ×3, first 2 shown]
	s_or_b64 s[34:35], s[0:1], s[34:35]
	s_mul_i32 s0, s56, s71
	s_mul_hi_u32 s1, s56, s69
	v_mul_f32_e32 v1, 0x4f7ffffe, v1
	v_mul_f32_e32 v3, 0x4f7ffffe, v3
	;; [unrolled: 1-line block ×3, first 2 shown]
	s_add_i32 s0, s1, s0
	s_mul_i32 s1, s57, s69
	v_cvt_u32_f32_e32 v1, v1
	v_cvt_u32_f32_e32 v3, v3
	;; [unrolled: 1-line block ×3, first 2 shown]
	s_add_i32 s1, s0, s1
	s_mul_i32 s0, s56, s69
	s_mul_i32 s56, s58, s70
	s_mul_hi_u32 s57, s58, s14
	s_add_i32 s56, s57, s56
	s_mul_i32 s57, s59, s14
	s_add_i32 s57, s56, s57
	s_mul_i32 s56, s58, s14
	s_sub_i32 s14, 0, s81
	s_sub_i32 s58, 0, s79
	v_mul_lo_u32 v2, s14, v1
	v_mul_lo_u32 v4, s15, v3
	;; [unrolled: 1-line block ×3, first 2 shown]
	s_and_b32 s77, s66, 0xffff
	s_ashr_i32 s78, s68, 31
	s_lshl_b64 s[0:1], s[0:1], 1
	s_lshl_b64 s[56:57], s[56:57], 1
	s_ashr_i32 s80, s16, 31
	v_mul_hi_u32 v2, v1, v2
	v_mul_hi_u32 v4, v3, v4
	;; [unrolled: 1-line block ×3, first 2 shown]
	s_add_u32 s0, s0, s56
	s_addc_u32 s1, s1, s57
	s_add_u32 s14, s26, s0
	s_addc_u32 s15, s27, s1
	v_add_u32_e32 v5, v1, v2
	v_mov_b32_e32 v6, 0
	v_add_u32_e32 v7, v3, v4
	v_add_u32_e32 v8, v8, v9
	s_mov_b32 s83, 0x7f800000
	s_mov_b64 s[26:27], 0
	s_lshl_b64 s[54:55], s[54:55], 1
	s_lshl_b64 s[52:53], s[52:53], 1
	;; [unrolled: 1-line block ×4, first 2 shown]
	s_branch .LBB53_3
.LBB53_2:                               ;   in Loop: Header=BB53_3 Depth=1
	v_add_u32_e32 v0, s77, v0
	v_cmp_le_i32_e32 vcc, s11, v0
	s_or_b64 s[26:27], vcc, s[26:27]
	s_andn2_b64 exec, exec, s[26:27]
	s_cbranch_execz .LBB53_22
.LBB53_3:                               ; =>This Loop Header: Depth=1
                                        ;     Child Loop BB53_6 Depth 2
                                        ;       Child Loop BB53_9 Depth 3
                                        ;         Child Loop BB53_12 Depth 4
                                        ;           Child Loop BB53_15 Depth 5
	v_sub_u32_e32 v1, 0, v0
	v_max_i32_e32 v1, v0, v1
	v_mul_hi_u32 v2, v1, v5
	v_ashrrev_i32_e32 v9, 31, v0
	v_xor_b32_e32 v4, s80, v9
	v_mul_hi_u32 v12, v1, v8
	v_mul_lo_u32 v3, v2, s81
	v_add_u32_e32 v10, 1, v2
	v_sub_u32_e32 v3, v1, v3
	v_cmp_le_u32_e32 vcc, s81, v3
	v_cndmask_b32_e32 v2, v2, v10, vcc
	v_subrev_u32_e32 v10, s81, v3
	v_cndmask_b32_e32 v3, v3, v10, vcc
	v_add_u32_e32 v10, 1, v2
	v_cmp_le_u32_e32 vcc, s81, v3
	v_cndmask_b32_e32 v2, v2, v10, vcc
	v_xor_b32_e32 v2, v2, v4
	v_sub_u32_e32 v2, v2, v4
	v_sub_u32_e32 v3, 0, v2
	v_max_i32_e32 v4, v2, v3
	v_mul_hi_u32 v3, v4, v7
	v_mul_lo_u32 v10, v2, s16
	v_ashrrev_i32_e32 v2, 31, v2
	v_mul_lo_u32 v11, v3, s82
	v_sub_u32_e32 v3, v0, v10
	v_sub_u32_e32 v4, v4, v11
	v_subrev_u32_e32 v10, s82, v4
	v_cmp_le_u32_e32 vcc, s82, v4
	v_cndmask_b32_e32 v4, v4, v10, vcc
	v_subrev_u32_e32 v10, s82, v4
	v_cmp_le_u32_e32 vcc, s82, v4
	v_cndmask_b32_e32 v4, v4, v10, vcc
	v_mul_lo_u32 v10, v12, s79
	v_xor_b32_e32 v4, v4, v2
	v_sub_u32_e32 v4, v4, v2
	v_xor_b32_e32 v2, s78, v9
	v_sub_u32_e32 v1, v1, v10
	v_add_u32_e32 v9, 1, v12
	v_cmp_le_u32_e32 vcc, s79, v1
	v_subrev_u32_e32 v10, s79, v1
	v_cndmask_b32_e32 v9, v12, v9, vcc
	v_cndmask_b32_e32 v1, v1, v10, vcc
	v_add_u32_e32 v10, 1, v9
	v_cmp_le_u32_e32 vcc, s79, v1
	v_cndmask_b32_e32 v1, v9, v10, vcc
	v_xor_b32_e32 v1, v1, v2
	s_andn2_b64 vcc, exec, s[2:3]
	v_sub_u32_e32 v9, v1, v2
	s_cbranch_vccnz .LBB53_17
; %bb.4:                                ;   in Loop: Header=BB53_3 Depth=1
	v_mul_lo_u32 v1, v9, s17
	v_mul_lo_u32 v2, v4, s18
	;; [unrolled: 1-line block ×3, first 2 shown]
	s_mov_b32 s84, 0
	v_subrev_u32_e32 v10, s23, v1
	v_subrev_u32_e32 v11, s44, v2
	v_mov_b32_e32 v1, 0
	v_subrev_u32_e32 v12, s45, v12
	v_mov_b32_e32 v2, 0
	s_mov_b64 s[56:57], s[14:15]
	s_branch .LBB53_6
.LBB53_5:                               ;   in Loop: Header=BB53_6 Depth=2
	s_add_i32 s84, s84, 1
	s_add_u32 s56, s56, s54
	s_addc_u32 s57, s57, s55
	s_cmp_eq_u32 s84, s13
	s_cbranch_scc1 .LBB53_18
.LBB53_6:                               ;   Parent Loop BB53_3 Depth=1
                                        ; =>  This Loop Header: Depth=2
                                        ;       Child Loop BB53_9 Depth 3
                                        ;         Child Loop BB53_12 Depth 4
                                        ;           Child Loop BB53_15 Depth 5
	s_andn2_b64 vcc, exec, s[4:5]
	s_cbranch_vccnz .LBB53_5
; %bb.7:                                ;   in Loop: Header=BB53_6 Depth=2
	s_mul_i32 s0, s43, s84
	s_mul_hi_u32 s1, s42, s84
	s_add_i32 s1, s1, s0
	s_mul_i32 s0, s42, s84
	s_lshl_b64 s[0:1], s[0:1], 1
	s_add_u32 s85, s12, s0
	s_addc_u32 s86, s33, s1
	s_mov_b32 s87, 0
	s_mov_b64 s[58:59], s[56:57]
	s_branch .LBB53_9
.LBB53_8:                               ;   in Loop: Header=BB53_9 Depth=3
	s_add_i32 s87, s87, 1
	s_add_u32 s58, s58, s52
	s_addc_u32 s59, s59, s53
	s_cmp_eq_u32 s87, s46
	s_cbranch_scc1 .LBB53_5
.LBB53_9:                               ;   Parent Loop BB53_3 Depth=1
                                        ;     Parent Loop BB53_6 Depth=2
                                        ; =>    This Loop Header: Depth=3
                                        ;         Child Loop BB53_12 Depth 4
                                        ;           Child Loop BB53_15 Depth 5
	s_andn2_b64 vcc, exec, s[6:7]
	s_cbranch_vccnz .LBB53_8
; %bb.10:                               ;   in Loop: Header=BB53_9 Depth=3
	s_mul_i32 s0, s87, s20
	v_add_u32_e32 v16, s0, v10
	v_mad_u64_u32 v[13:14], s[0:1], s40, v16, 0
	v_cmp_gt_i32_e32 vcc, 0, v16
	s_mov_b32 s88, 0
	v_mad_u64_u32 v[14:15], s[0:1], s41, v16, v[14:15]
	v_cmp_le_i32_e64 s[0:1], s8, v16
	s_or_b64 s[66:67], vcc, s[0:1]
	v_lshlrev_b64 v[13:14], 1, v[13:14]
	v_mov_b32_e32 v15, s86
	v_add_co_u32_e32 v13, vcc, s85, v13
	v_addc_co_u32_e32 v14, vcc, v15, v14, vcc
	s_mov_b64 s[68:69], s[58:59]
	s_branch .LBB53_12
.LBB53_11:                              ;   in Loop: Header=BB53_12 Depth=4
	s_add_i32 s88, s88, 1
	s_add_u32 s68, s68, s50
	s_addc_u32 s69, s69, s51
	s_cmp_eq_u32 s88, s47
	s_cbranch_scc1 .LBB53_8
.LBB53_12:                              ;   Parent Loop BB53_3 Depth=1
                                        ;     Parent Loop BB53_6 Depth=2
                                        ;       Parent Loop BB53_9 Depth=3
                                        ; =>      This Loop Header: Depth=4
                                        ;           Child Loop BB53_15 Depth 5
	s_andn2_b64 vcc, exec, s[24:25]
	s_cbranch_vccnz .LBB53_11
; %bb.13:                               ;   in Loop: Header=BB53_12 Depth=4
	s_mul_i32 s0, s88, s21
	v_add_u32_e32 v18, s0, v11
	v_mad_u64_u32 v[15:16], s[0:1], s38, v18, 0
	v_cmp_gt_i32_e32 vcc, 0, v18
	s_mov_b64 s[72:73], s[68:69]
	v_mad_u64_u32 v[16:17], s[0:1], s39, v18, v[16:17]
	v_cmp_le_i32_e64 s[0:1], s9, v18
	s_or_b64 s[0:1], vcc, s[0:1]
	v_lshlrev_b64 v[15:16], 1, v[15:16]
	s_or_b64 s[70:71], s[66:67], s[0:1]
	v_add_co_u32_e32 v15, vcc, v13, v15
	v_addc_co_u32_e32 v16, vcc, v14, v16, vcc
	v_mov_b32_e32 v17, v12
	s_mov_b32 s89, s76
	s_branch .LBB53_15
.LBB53_14:                              ;   in Loop: Header=BB53_15 Depth=5
	s_or_b64 exec, exec, s[0:1]
	s_add_i32 s89, s89, -1
	s_add_u32 s72, s72, s48
	s_addc_u32 s73, s73, s49
	s_cmp_eq_u32 s89, 0
	v_add_u32_e32 v17, s22, v17
	s_cbranch_scc1 .LBB53_11
.LBB53_15:                              ;   Parent Loop BB53_3 Depth=1
                                        ;     Parent Loop BB53_6 Depth=2
                                        ;       Parent Loop BB53_9 Depth=3
                                        ;         Parent Loop BB53_12 Depth=4
                                        ; =>        This Inner Loop Header: Depth=5
	v_cmp_gt_i32_e32 vcc, 0, v17
	v_cmp_le_i32_e64 s[0:1], s10, v17
	s_or_b64 s[0:1], vcc, s[0:1]
	s_nor_b64 s[90:91], s[70:71], s[0:1]
	s_and_saveexec_b64 s[0:1], s[90:91]
	s_cbranch_execz .LBB53_14
; %bb.16:                               ;   in Loop: Header=BB53_15 Depth=5
	v_mad_u64_u32 v[18:19], s[90:91], s36, v17, 0
	v_mad_u64_u32 v[19:20], s[90:91], s37, v17, v[19:20]
	global_load_ushort v20, v6, s[72:73]
	v_lshlrev_b64 v[18:19], 1, v[18:19]
	v_add_co_u32_e32 v18, vcc, v15, v18
	v_addc_co_u32_e32 v19, vcc, v16, v19, vcc
	global_load_ushort v18, v[18:19], off
	s_waitcnt vmcnt(1)
	v_lshlrev_b32_e32 v20, 16, v20
	v_cvt_f64_f32_e32 v[20:21], v20
	s_waitcnt vmcnt(0)
	v_lshlrev_b32_e32 v18, 16, v18
	v_cvt_f64_f32_e32 v[18:19], v18
	v_fma_f64 v[1:2], v[18:19], v[20:21], v[1:2]
	s_branch .LBB53_14
.LBB53_17:                              ;   in Loop: Header=BB53_3 Depth=1
	v_mov_b32_e32 v1, 0
	v_mov_b32_e32 v2, 0
.LBB53_18:                              ;   in Loop: Header=BB53_3 Depth=1
	v_ashrrev_i32_e32 v10, 31, v3
	v_mul_lo_u32 v12, s61, v3
	v_mul_lo_u32 v13, s60, v10
	v_mad_u64_u32 v[10:11], s[0:1], s60, v3, 0
	v_ashrrev_i32_e32 v3, 31, v4
	v_mul_lo_u32 v3, s62, v3
	v_add3_u32 v11, v11, v13, v12
	v_mad_u64_u32 v[10:11], s[0:1], s62, v4, v[10:11]
	v_mul_lo_u32 v4, s63, v4
	v_ashrrev_i32_e32 v12, 31, v9
	s_and_b64 vcc, exec, s[34:35]
	v_add3_u32 v11, v4, v11, v3
	v_mad_u64_u32 v[3:4], s[0:1], s64, v9, v[10:11]
	v_mul_lo_u32 v9, s65, v9
	v_mul_lo_u32 v10, s64, v12
	s_mov_b64 s[0:1], -1
	v_add3_u32 v4, v9, v4, v10
	v_lshlrev_b64 v[3:4], 1, v[3:4]
	s_cbranch_vccz .LBB53_20
; %bb.19:                               ;   in Loop: Header=BB53_3 Depth=1
	v_mov_b32_e32 v10, s75
	v_add_co_u32_e32 v9, vcc, s74, v3
	v_addc_co_u32_e32 v10, vcc, v10, v4, vcc
	global_load_ushort v11, v[9:10], off
	s_waitcnt vmcnt(0)
	v_lshlrev_b32_e32 v11, 16, v11
	v_cvt_f64_f32_e32 v[11:12], v11
	v_mul_f64 v[11:12], s[30:31], v[11:12]
	v_fma_f64 v[11:12], s[28:29], v[1:2], v[11:12]
	v_cvt_f32_f64_e32 v11, v[11:12]
	v_and_b32_e32 v12, 0x7f800000, v11
	v_cmp_ne_u32_sdwa s[0:1], v11, v6 src0_sel:WORD_0 src1_sel:DWORD
	v_cmp_eq_u32_e32 vcc, s83, v12
	s_and_b64 s[0:1], vcc, s[0:1]
	v_cndmask_b32_e64 v12, 0, 1, s[0:1]
	v_or_b32_sdwa v11, v11, v12 dst_sel:DWORD dst_unused:UNUSED_PAD src0_sel:WORD_1 src1_sel:DWORD
	global_store_short v[9:10], v11, off
	s_mov_b64 s[0:1], 0
.LBB53_20:                              ;   in Loop: Header=BB53_3 Depth=1
	s_andn2_b64 vcc, exec, s[0:1]
	s_cbranch_vccnz .LBB53_2
; %bb.21:                               ;   in Loop: Header=BB53_3 Depth=1
	v_cvt_f32_f64_e32 v1, v[1:2]
	v_mov_b32_e32 v2, s75
	v_and_b32_e32 v9, 0x7f800000, v1
	v_cmp_ne_u32_sdwa s[0:1], v1, v6 src0_sel:WORD_0 src1_sel:DWORD
	v_cmp_eq_u32_e32 vcc, s83, v9
	s_and_b64 s[0:1], vcc, s[0:1]
	v_cndmask_b32_e64 v9, 0, 1, s[0:1]
	v_or_b32_sdwa v9, v1, v9 dst_sel:DWORD dst_unused:UNUSED_PAD src0_sel:WORD_1 src1_sel:DWORD
	v_add_co_u32_e32 v1, vcc, s74, v3
	v_addc_co_u32_e32 v2, vcc, v2, v4, vcc
	global_store_short v[1:2], v9, off
	s_branch .LBB53_2
.LBB53_22:
	s_endpgm
	.section	.rodata,"a",@progbits
	.p2align	6, 0x0
	.amdhsa_kernel naive_conv_ab_nonpacked_fwd_ncdhw_ushort_double_ushort
		.amdhsa_group_segment_fixed_size 0
		.amdhsa_private_segment_fixed_size 0
		.amdhsa_kernarg_size 528
		.amdhsa_user_sgpr_count 6
		.amdhsa_user_sgpr_private_segment_buffer 1
		.amdhsa_user_sgpr_dispatch_ptr 0
		.amdhsa_user_sgpr_queue_ptr 0
		.amdhsa_user_sgpr_kernarg_segment_ptr 1
		.amdhsa_user_sgpr_dispatch_id 0
		.amdhsa_user_sgpr_flat_scratch_init 0
		.amdhsa_user_sgpr_private_segment_size 0
		.amdhsa_uses_dynamic_stack 0
		.amdhsa_system_sgpr_private_segment_wavefront_offset 0
		.amdhsa_system_sgpr_workgroup_id_x 1
		.amdhsa_system_sgpr_workgroup_id_y 0
		.amdhsa_system_sgpr_workgroup_id_z 0
		.amdhsa_system_sgpr_workgroup_info 0
		.amdhsa_system_vgpr_workitem_id 0
		.amdhsa_next_free_vgpr 22
		.amdhsa_next_free_sgpr 92
		.amdhsa_reserve_vcc 1
		.amdhsa_reserve_flat_scratch 0
		.amdhsa_float_round_mode_32 0
		.amdhsa_float_round_mode_16_64 0
		.amdhsa_float_denorm_mode_32 3
		.amdhsa_float_denorm_mode_16_64 3
		.amdhsa_dx10_clamp 1
		.amdhsa_ieee_mode 1
		.amdhsa_fp16_overflow 0
		.amdhsa_exception_fp_ieee_invalid_op 0
		.amdhsa_exception_fp_denorm_src 0
		.amdhsa_exception_fp_ieee_div_zero 0
		.amdhsa_exception_fp_ieee_overflow 0
		.amdhsa_exception_fp_ieee_underflow 0
		.amdhsa_exception_fp_ieee_inexact 0
		.amdhsa_exception_int_div_zero 0
	.end_amdhsa_kernel
	.text
.Lfunc_end53:
	.size	naive_conv_ab_nonpacked_fwd_ncdhw_ushort_double_ushort, .Lfunc_end53-naive_conv_ab_nonpacked_fwd_ncdhw_ushort_double_ushort
                                        ; -- End function
	.set naive_conv_ab_nonpacked_fwd_ncdhw_ushort_double_ushort.num_vgpr, 22
	.set naive_conv_ab_nonpacked_fwd_ncdhw_ushort_double_ushort.num_agpr, 0
	.set naive_conv_ab_nonpacked_fwd_ncdhw_ushort_double_ushort.numbered_sgpr, 92
	.set naive_conv_ab_nonpacked_fwd_ncdhw_ushort_double_ushort.num_named_barrier, 0
	.set naive_conv_ab_nonpacked_fwd_ncdhw_ushort_double_ushort.private_seg_size, 0
	.set naive_conv_ab_nonpacked_fwd_ncdhw_ushort_double_ushort.uses_vcc, 1
	.set naive_conv_ab_nonpacked_fwd_ncdhw_ushort_double_ushort.uses_flat_scratch, 0
	.set naive_conv_ab_nonpacked_fwd_ncdhw_ushort_double_ushort.has_dyn_sized_stack, 0
	.set naive_conv_ab_nonpacked_fwd_ncdhw_ushort_double_ushort.has_recursion, 0
	.set naive_conv_ab_nonpacked_fwd_ncdhw_ushort_double_ushort.has_indirect_call, 0
	.section	.AMDGPU.csdata,"",@progbits
; Kernel info:
; codeLenInByte = 1976
; TotalNumSgprs: 96
; NumVgprs: 22
; ScratchSize: 0
; MemoryBound: 0
; FloatMode: 240
; IeeeMode: 1
; LDSByteSize: 0 bytes/workgroup (compile time only)
; SGPRBlocks: 11
; VGPRBlocks: 5
; NumSGPRsForWavesPerEU: 96
; NumVGPRsForWavesPerEU: 22
; Occupancy: 8
; WaveLimiterHint : 1
; COMPUTE_PGM_RSRC2:SCRATCH_EN: 0
; COMPUTE_PGM_RSRC2:USER_SGPR: 6
; COMPUTE_PGM_RSRC2:TRAP_HANDLER: 0
; COMPUTE_PGM_RSRC2:TGID_X_EN: 1
; COMPUTE_PGM_RSRC2:TGID_Y_EN: 0
; COMPUTE_PGM_RSRC2:TGID_Z_EN: 0
; COMPUTE_PGM_RSRC2:TIDIG_COMP_CNT: 0
	.text
	.protected	naive_conv_ab_packed_fwd_ncdhw_int8_t_int32_t_int32_t ; -- Begin function naive_conv_ab_packed_fwd_ncdhw_int8_t_int32_t_int32_t
	.globl	naive_conv_ab_packed_fwd_ncdhw_int8_t_int32_t_int32_t
	.p2align	8
	.type	naive_conv_ab_packed_fwd_ncdhw_int8_t_int32_t_int32_t,@function
naive_conv_ab_packed_fwd_ncdhw_int8_t_int32_t_int32_t: ; @naive_conv_ab_packed_fwd_ncdhw_int8_t_int32_t_int32_t
; %bb.0:
	s_load_dwordx16 s[8:23], s[4:5], 0xb8
	s_abs_i32 s7, s6
	s_waitcnt lgkmcnt(0)
	s_abs_i32 s1, s12
	v_cvt_f32_u32_e32 v1, s1
	s_sub_i32 s2, 0, s1
	s_mul_i32 s0, s12, s11
	s_mul_i32 s44, s16, s15
	v_rcp_iflag_f32_e32 v1, v1
	v_mul_f32_e32 v1, 0x4f7ffffe, v1
	v_cvt_u32_f32_e32 v1, v1
	v_readfirstlane_b32 s3, v1
	s_mul_i32 s2, s2, s3
	s_mul_hi_u32 s2, s3, s2
	s_add_i32 s3, s3, s2
	s_mul_hi_u32 s2, s7, s3
	s_mul_i32 s3, s2, s1
	s_sub_i32 s3, s7, s3
	s_add_i32 s24, s2, 1
	s_sub_i32 s25, s3, s1
	s_cmp_ge_u32 s3, s1
	s_cselect_b32 s2, s24, s2
	s_cselect_b32 s3, s25, s3
	s_add_i32 s24, s2, 1
	s_cmp_ge_u32 s3, s1
	s_cselect_b32 s1, s24, s2
	s_abs_i32 s34, s11
	s_abs_i32 s33, s0
	v_cvt_f32_u32_e32 v1, s34
	v_cvt_f32_u32_e32 v2, s33
	s_mul_i32 s11, s44, s14
	v_cmp_gt_i32_e32 vcc, s11, v0
	v_rcp_iflag_f32_e32 v1, v1
	v_rcp_iflag_f32_e32 v2, v2
	v_mul_f32_e32 v1, 0x4f7ffffe, v1
	v_mul_f32_e32 v2, 0x4f7ffffe, v2
	v_cvt_u32_f32_e32 v1, v1
	v_cvt_u32_f32_e32 v2, v2
	v_readfirstlane_b32 s3, v1
	v_readfirstlane_b32 s2, v2
	s_and_saveexec_b64 s[24:25], vcc
	s_cbranch_execz .LBB54_21
; %bb.1:
	s_ashr_i32 s35, s6, 31
	s_ashr_i32 s36, s12, 31
	s_xor_b32 s36, s35, s36
	s_xor_b32 s1, s1, s36
	s_sub_i32 s40, s1, s36
	s_sub_i32 s1, 0, s34
	s_mul_i32 s1, s1, s3
	s_mul_hi_u32 s1, s3, s1
	s_ashr_i32 s45, s0, 31
	s_sub_i32 s0, 0, s33
	s_abs_i32 s42, s40
	s_add_i32 s3, s3, s1
	s_mul_i32 s0, s0, s2
	s_mul_hi_u32 s43, s42, s3
	s_mul_hi_u32 s0, s2, s0
	s_add_i32 s0, s2, s0
	s_mul_i32 s43, s43, s34
	s_load_dwordx8 s[24:31], s[4:5], 0x0
	s_ashr_i32 s41, s40, 31
	s_load_dwordx2 s[2:3], s[4:5], 0x108
	s_mul_hi_u32 s46, s7, s0
	s_load_dwordx2 s[0:1], s[4:5], 0x20
	s_load_dwordx4 s[36:39], s[4:5], 0xf8
	s_load_dword s47, s[4:5], 0x11c
	s_mul_i32 s40, s40, s12
	s_sub_i32 s4, s42, s43
	s_sub_i32 s6, s6, s40
	;; [unrolled: 1-line block ×3, first 2 shown]
	s_cmp_ge_u32 s4, s34
	s_cselect_b32 s4, s5, s4
	s_sub_i32 s5, s4, s34
	s_cmp_ge_u32 s4, s34
	s_cselect_b32 s4, s5, s4
	s_mul_i32 s5, s46, s33
	s_xor_b32 s4, s4, s41
	s_sub_i32 s5, s7, s5
	s_sub_i32 s34, s4, s41
	s_xor_b32 s4, s35, s45
	s_add_i32 s7, s46, 1
	s_sub_i32 s35, s5, s33
	s_cmp_ge_u32 s5, s33
	s_cselect_b32 s7, s7, s46
	s_cselect_b32 s5, s35, s5
	s_add_i32 s35, s7, 1
	s_cmp_ge_u32 s5, s33
	s_cselect_b32 s5, s35, s7
	s_xor_b32 s5, s5, s4
	s_waitcnt lgkmcnt(0)
	s_mul_i32 s50, s3, s12
	s_mul_i32 s3, s3, s13
	s_sub_i32 s7, s5, s4
	s_mul_hi_i32 s4, s34, s3
	s_mul_i32 s5, s34, s3
	s_ashr_i32 s3, s8, 31
	s_ashr_i32 s33, s9, 31
	;; [unrolled: 1-line block ×4, first 2 shown]
	s_mul_i32 s40, s7, s13
	s_mul_hi_i32 s35, s7, s13
	s_add_u32 s5, s40, s5
	s_mul_i32 s40, s9, s8
	s_addc_u32 s4, s35, s4
	s_mul_hi_i32 s35, s9, s8
	s_mul_i32 s41, s40, s48
	s_mul_hi_u32 s42, s40, s10
	s_add_i32 s41, s42, s41
	s_mul_i32 s35, s35, s10
	s_mul_i32 s40, s40, s10
	s_add_i32 s35, s41, s35
	s_mul_i32 s4, s40, s4
	s_mul_hi_u32 s41, s40, s5
	s_add_i32 s4, s41, s4
	s_mul_i32 s35, s35, s5
	s_add_i32 s35, s4, s35
	s_mul_i32 s40, s40, s5
	s_add_u32 s4, s24, s40
	s_addc_u32 s5, s25, s35
	s_mul_hi_i32 s24, s7, s12
	s_mul_i32 s7, s7, s12
	s_ashr_i32 s12, s38, 31
	s_ashr_i32 s49, s2, 31
	;; [unrolled: 1-line block ×3, first 2 shown]
	s_add_u32 s46, s7, s6
	s_addc_u32 s57, s24, s25
	s_mul_hi_i32 s6, s34, s50
	s_mul_i32 s34, s34, s50
	s_ashr_i32 s50, s16, 31
	s_mul_hi_i32 s7, s15, s14
	s_mul_i32 s14, s15, s14
	s_add_u32 s24, s46, s34
	s_mul_i32 s25, s14, s50
	s_mul_hi_u32 s34, s14, s16
	s_addc_u32 s6, s57, s6
	s_add_i32 s25, s34, s25
	s_mul_i32 s7, s7, s16
	s_mul_i32 s14, s14, s16
	s_add_i32 s7, s25, s7
	s_mul_i32 s6, s14, s6
	s_mul_hi_u32 s25, s14, s24
	s_add_i32 s6, s25, s6
	s_mul_i32 s7, s7, s24
	s_add_i32 s7, s6, s7
	s_mul_i32 s6, s14, s24
	s_lshl_b64 s[6:7], s[6:7], 2
	s_add_u32 s51, s0, s6
	s_addc_u32 s52, s1, s7
	s_cmp_gt_i32 s13, 0
	v_cmp_neq_f64_e64 s[0:1], s[28:29], 1.0
	v_cmp_neq_f64_e64 s[42:43], s[30:31], 0
	s_cselect_b64 s[6:7], -1, 0
	s_cmp_gt_i32 s38, 0
	s_cselect_b64 s[24:25], -1, 0
	s_cmp_gt_i32 s39, 0
	;; [unrolled: 2-line block ×3, first 2 shown]
	s_cselect_b64 s[40:41], -1, 0
	s_abs_i32 s54, s16
	s_abs_i32 s60, s44
	;; [unrolled: 1-line block ×3, first 2 shown]
	v_cvt_f32_u32_e32 v1, s54
	v_cvt_f32_u32_e32 v2, s61
	;; [unrolled: 1-line block ×3, first 2 shown]
	s_mul_i32 s55, s2, s39
	s_mul_i32 s56, s55, s38
	s_or_b64 s[42:43], s[0:1], s[42:43]
	s_mul_i32 s0, s56, s57
	s_mul_hi_u32 s1, s56, s46
	v_rcp_iflag_f32_e32 v1, v1
	v_rcp_iflag_f32_e32 v2, v2
	v_rcp_iflag_f32_e32 v3, v3
	s_add_i32 s0, s1, s0
	s_mul_hi_i32 s57, s2, s39
	s_mul_i32 s1, s55, s12
	s_mul_hi_u32 s12, s55, s38
	s_add_i32 s1, s12, s1
	s_mul_i32 s12, s57, s38
	s_add_i32 s58, s1, s12
	s_mul_i32 s1, s58, s46
	v_mul_f32_e32 v1, 0x4f7ffffe, v1
	v_mul_f32_e32 v2, 0x4f7ffffe, v2
	;; [unrolled: 1-line block ×3, first 2 shown]
	s_add_i32 s0, s0, s1
	s_mul_i32 s1, s56, s46
	v_cvt_u32_f32_e32 v1, v1
	v_cvt_u32_f32_e32 v2, v2
	;; [unrolled: 1-line block ×3, first 2 shown]
	s_mul_i32 s12, s1, s45
	s_mul_hi_u32 s14, s1, s13
	s_add_i32 s12, s14, s12
	s_mul_i32 s0, s0, s13
	s_sub_i32 s14, 0, s54
	s_add_i32 s12, s12, s0
	s_ashr_i32 s59, s44, 31
	s_sub_i32 s0, 0, s61
	s_sub_i32 s44, 0, s60
	v_mul_lo_u32 v4, s14, v1
	v_mul_lo_u32 v5, s0, v2
	;; [unrolled: 1-line block ×3, first 2 shown]
	v_cvt_i32_f64_e32 v7, s[28:29]
	v_mul_hi_u32 v4, v1, v4
	v_mul_hi_u32 v5, v2, v5
	;; [unrolled: 1-line block ×3, first 2 shown]
	v_cvt_i32_f64_e32 v8, s[30:31]
	s_and_b32 s53, s47, 0xffff
	s_mul_i32 s1, s1, s13
	s_add_u32 s26, s26, s1
	s_addc_u32 s27, s27, s12
	s_mov_b32 s62, s8
	s_mov_b32 s63, s9
	;; [unrolled: 1-line block ×4, first 2 shown]
	s_mov_b64 s[8:9], 0
	v_add_u32_e32 v9, v1, v4
	v_mov_b32_e32 v10, 0
	v_add_u32_e32 v11, v2, v5
	v_add_u32_e32 v12, v3, v6
	s_branch .LBB54_3
.LBB54_2:                               ;   in Loop: Header=BB54_3 Depth=1
	v_add_u32_e32 v0, s53, v0
	v_cmp_le_i32_e32 vcc, s11, v0
	s_or_b64 s[8:9], vcc, s[8:9]
	s_andn2_b64 exec, exec, s[8:9]
	s_cbranch_execz .LBB54_21
.LBB54_3:                               ; =>This Loop Header: Depth=1
                                        ;     Child Loop BB54_6 Depth 2
                                        ;       Child Loop BB54_9 Depth 3
                                        ;         Child Loop BB54_12 Depth 4
                                        ;           Child Loop BB54_15 Depth 5
	v_sub_u32_e32 v1, 0, v0
	v_max_i32_e32 v3, v0, v1
	v_mul_hi_u32 v1, v3, v9
	v_ashrrev_i32_e32 v4, 31, v0
	v_xor_b32_e32 v5, s50, v4
	v_mul_hi_u32 v13, v3, v12
	v_mul_lo_u32 v2, v1, s54
	v_add_u32_e32 v6, 1, v1
	v_xor_b32_e32 v4, s59, v4
	v_sub_u32_e32 v2, v3, v2
	v_cmp_le_u32_e32 vcc, s54, v2
	v_cndmask_b32_e32 v1, v1, v6, vcc
	v_subrev_u32_e32 v6, s54, v2
	v_cndmask_b32_e32 v2, v2, v6, vcc
	v_add_u32_e32 v6, 1, v1
	v_cmp_le_u32_e32 vcc, s54, v2
	v_cndmask_b32_e32 v1, v1, v6, vcc
	v_xor_b32_e32 v1, v1, v5
	v_sub_u32_e32 v1, v1, v5
	v_sub_u32_e32 v2, 0, v1
	v_max_i32_e32 v2, v1, v2
	v_mul_hi_u32 v5, v2, v11
	v_mul_lo_u32 v6, v1, s16
	v_ashrrev_i32_e32 v14, 31, v1
	v_mul_lo_u32 v5, v5, s61
	v_sub_u32_e32 v1, v0, v6
	v_sub_u32_e32 v2, v2, v5
	v_subrev_u32_e32 v5, s61, v2
	v_cmp_le_u32_e32 vcc, s61, v2
	v_cndmask_b32_e32 v2, v2, v5, vcc
	v_subrev_u32_e32 v5, s61, v2
	v_cmp_le_u32_e32 vcc, s61, v2
	v_cndmask_b32_e32 v2, v2, v5, vcc
	v_mul_lo_u32 v5, v13, s60
	v_xor_b32_e32 v2, v2, v14
	v_sub_u32_e32 v2, v2, v14
	v_sub_u32_e32 v3, v3, v5
	v_add_u32_e32 v5, 1, v13
	v_cmp_le_u32_e32 vcc, s60, v3
	v_subrev_u32_e32 v6, s60, v3
	v_cndmask_b32_e32 v5, v13, v5, vcc
	v_cndmask_b32_e32 v3, v3, v6, vcc
	v_add_u32_e32 v6, 1, v5
	v_cmp_le_u32_e32 vcc, s60, v3
	v_cndmask_b32_e32 v3, v5, v6, vcc
	v_xor_b32_e32 v3, v3, v4
	v_sub_u32_e32 v14, v3, v4
	s_andn2_b64 vcc, exec, s[6:7]
	v_mov_b32_e32 v13, 0
	s_cbranch_vccnz .LBB54_17
; %bb.4:                                ;   in Loop: Header=BB54_3 Depth=1
	v_mul_lo_u32 v3, v14, s17
	v_mul_lo_u32 v4, v2, s18
	;; [unrolled: 1-line block ×3, first 2 shown]
	v_mov_b32_e32 v13, 0
	v_subrev_u32_e32 v15, s23, v3
	v_subrev_u32_e32 v16, s36, v4
	;; [unrolled: 1-line block ×3, first 2 shown]
	s_mov_b32 s66, 0
	s_mov_b64 s[12:13], s[26:27]
	s_branch .LBB54_6
.LBB54_5:                               ;   in Loop: Header=BB54_6 Depth=2
	s_add_i32 s66, s66, 1
	s_add_u32 s12, s12, s56
	s_addc_u32 s13, s13, s58
	s_cmp_eq_u32 s66, s64
	s_cbranch_scc1 .LBB54_17
.LBB54_6:                               ;   Parent Loop BB54_3 Depth=1
                                        ; =>  This Loop Header: Depth=2
                                        ;       Child Loop BB54_9 Depth 3
                                        ;         Child Loop BB54_12 Depth 4
                                        ;           Child Loop BB54_15 Depth 5
	s_andn2_b64 vcc, exec, s[24:25]
	s_cbranch_vccnz .LBB54_5
; %bb.7:                                ;   in Loop: Header=BB54_6 Depth=2
	s_mul_i32 s0, s66, s3
	s_mul_hi_u32 s1, s66, s62
	s_add_i32 s67, s1, s0
	s_mul_i32 s68, s66, s62
	s_mov_b32 s69, 0
	s_mov_b64 s[14:15], s[12:13]
	s_branch .LBB54_9
.LBB54_8:                               ;   in Loop: Header=BB54_9 Depth=3
	s_add_i32 s69, s69, 1
	s_add_u32 s14, s14, s55
	s_addc_u32 s15, s15, s57
	s_cmp_eq_u32 s69, s38
	s_cbranch_scc1 .LBB54_5
.LBB54_9:                               ;   Parent Loop BB54_3 Depth=1
                                        ;     Parent Loop BB54_6 Depth=2
                                        ; =>    This Loop Header: Depth=3
                                        ;         Child Loop BB54_12 Depth 4
                                        ;           Child Loop BB54_15 Depth 5
	s_andn2_b64 vcc, exec, s[34:35]
	s_cbranch_vccnz .LBB54_8
; %bb.10:                               ;   in Loop: Header=BB54_9 Depth=3
	s_mul_i32 s0, s69, s20
	v_add_u32_e32 v5, s0, v15
	v_mov_b32_e32 v3, s67
	v_add_co_u32_e32 v4, vcc, s68, v5
	v_addc_co_u32_e32 v3, vcc, 0, v3, vcc
	v_mul_lo_u32 v6, v3, s63
	v_mul_lo_u32 v18, v4, s33
	v_mad_u64_u32 v[3:4], s[0:1], v4, s63, 0
	v_cmp_gt_i32_e32 vcc, 0, v5
	v_cmp_le_i32_e64 s[0:1], s62, v5
	s_mov_b32 s70, 0
	s_or_b64 s[28:29], vcc, s[0:1]
	v_add3_u32 v4, v4, v18, v6
	s_mov_b64 s[30:31], s[14:15]
	s_branch .LBB54_12
.LBB54_11:                              ;   in Loop: Header=BB54_12 Depth=4
	s_add_i32 s70, s70, 1
	s_add_u32 s30, s30, s2
	s_addc_u32 s31, s31, s49
	s_cmp_eq_u32 s70, s39
	s_cbranch_scc1 .LBB54_8
.LBB54_12:                              ;   Parent Loop BB54_3 Depth=1
                                        ;     Parent Loop BB54_6 Depth=2
                                        ;       Parent Loop BB54_9 Depth=3
                                        ; =>      This Loop Header: Depth=4
                                        ;           Child Loop BB54_15 Depth 5
	s_andn2_b64 vcc, exec, s[40:41]
	s_cbranch_vccnz .LBB54_11
; %bb.13:                               ;   in Loop: Header=BB54_12 Depth=4
	s_mul_i32 s0, s70, s21
	v_add_u32_e32 v18, s0, v16
	v_add_co_u32_e64 v19, s[0:1], v3, v18
	v_addc_co_u32_e64 v5, s[0:1], 0, v4, s[0:1]
	v_mul_lo_u32 v21, v5, s10
	v_mov_b32_e32 v6, s5
	v_mov_b32_e32 v5, s4
	v_mul_lo_u32 v20, v19, s48
	v_mad_u64_u32 v[5:6], s[0:1], v19, s10, v[5:6]
	v_cmp_gt_i32_e32 vcc, 0, v18
	v_cmp_le_i32_e64 s[0:1], s63, v18
	s_or_b64 s[0:1], vcc, s[0:1]
	s_or_b64 s[44:45], s[28:29], s[0:1]
	v_add3_u32 v6, v21, v6, v20
	v_mov_b32_e32 v18, v17
	s_mov_b64 s[46:47], s[30:31]
	s_mov_b32 s71, s2
	s_branch .LBB54_15
.LBB54_14:                              ;   in Loop: Header=BB54_15 Depth=5
	s_or_b64 exec, exec, s[0:1]
	s_add_i32 s71, s71, -1
	s_add_u32 s46, s46, 1
	s_addc_u32 s47, s47, 0
	s_cmp_eq_u32 s71, 0
	v_add_u32_e32 v18, s22, v18
	s_cbranch_scc1 .LBB54_11
.LBB54_15:                              ;   Parent Loop BB54_3 Depth=1
                                        ;     Parent Loop BB54_6 Depth=2
                                        ;       Parent Loop BB54_9 Depth=3
                                        ;         Parent Loop BB54_12 Depth=4
                                        ; =>        This Inner Loop Header: Depth=5
	v_cmp_gt_i32_e32 vcc, 0, v18
	v_cmp_le_i32_e64 s[0:1], s10, v18
	s_or_b64 s[0:1], vcc, s[0:1]
	s_nor_b64 s[72:73], s[44:45], s[0:1]
	s_and_saveexec_b64 s[0:1], s[72:73]
	s_cbranch_execz .LBB54_14
; %bb.16:                               ;   in Loop: Header=BB54_15 Depth=5
	v_add_co_u32_e32 v19, vcc, v5, v18
	v_addc_co_u32_e32 v20, vcc, 0, v6, vcc
	global_load_sbyte v19, v[19:20], off
	s_nop 0
	global_load_sbyte v20, v10, s[46:47]
	s_waitcnt vmcnt(0)
	v_mad_i32_i24 v13, v20, v19, v13
	s_branch .LBB54_14
.LBB54_17:                              ;   in Loop: Header=BB54_3 Depth=1
	v_ashrrev_i32_e32 v3, 31, v2
	v_mad_i64_i32 v[3:4], s[0:1], v14, s65, v[2:3]
	v_ashrrev_i32_e32 v2, 31, v1
	s_and_b64 vcc, exec, s[42:43]
	v_mad_u64_u32 v[1:2], s[0:1], v3, s16, v[1:2]
	v_mul_lo_u32 v3, v3, s50
	v_mul_lo_u32 v4, v4, s16
	s_mov_b64 s[0:1], -1
	v_add3_u32 v2, v4, v2, v3
	v_lshlrev_b64 v[1:2], 2, v[1:2]
	s_cbranch_vccz .LBB54_19
; %bb.18:                               ;   in Loop: Header=BB54_3 Depth=1
	v_mov_b32_e32 v4, s52
	v_add_co_u32_e32 v3, vcc, s51, v1
	v_addc_co_u32_e32 v4, vcc, v4, v2, vcc
	global_load_dword v6, v[3:4], off
	v_mul_lo_u32 v5, v13, v7
	s_waitcnt vmcnt(0)
	v_mad_u64_u32 v[5:6], s[0:1], v6, v8, v[5:6]
	s_mov_b64 s[0:1], 0
	global_store_dword v[3:4], v5, off
.LBB54_19:                              ;   in Loop: Header=BB54_3 Depth=1
	s_andn2_b64 vcc, exec, s[0:1]
	s_cbranch_vccnz .LBB54_2
; %bb.20:                               ;   in Loop: Header=BB54_3 Depth=1
	v_mov_b32_e32 v3, s52
	v_add_co_u32_e32 v1, vcc, s51, v1
	v_addc_co_u32_e32 v2, vcc, v3, v2, vcc
	global_store_dword v[1:2], v13, off
	s_branch .LBB54_2
.LBB54_21:
	s_endpgm
	.section	.rodata,"a",@progbits
	.p2align	6, 0x0
	.amdhsa_kernel naive_conv_ab_packed_fwd_ncdhw_int8_t_int32_t_int32_t
		.amdhsa_group_segment_fixed_size 0
		.amdhsa_private_segment_fixed_size 0
		.amdhsa_kernarg_size 528
		.amdhsa_user_sgpr_count 6
		.amdhsa_user_sgpr_private_segment_buffer 1
		.amdhsa_user_sgpr_dispatch_ptr 0
		.amdhsa_user_sgpr_queue_ptr 0
		.amdhsa_user_sgpr_kernarg_segment_ptr 1
		.amdhsa_user_sgpr_dispatch_id 0
		.amdhsa_user_sgpr_flat_scratch_init 0
		.amdhsa_user_sgpr_private_segment_size 0
		.amdhsa_uses_dynamic_stack 0
		.amdhsa_system_sgpr_private_segment_wavefront_offset 0
		.amdhsa_system_sgpr_workgroup_id_x 1
		.amdhsa_system_sgpr_workgroup_id_y 0
		.amdhsa_system_sgpr_workgroup_id_z 0
		.amdhsa_system_sgpr_workgroup_info 0
		.amdhsa_system_vgpr_workitem_id 0
		.amdhsa_next_free_vgpr 22
		.amdhsa_next_free_sgpr 74
		.amdhsa_reserve_vcc 1
		.amdhsa_reserve_flat_scratch 0
		.amdhsa_float_round_mode_32 0
		.amdhsa_float_round_mode_16_64 0
		.amdhsa_float_denorm_mode_32 3
		.amdhsa_float_denorm_mode_16_64 3
		.amdhsa_dx10_clamp 1
		.amdhsa_ieee_mode 1
		.amdhsa_fp16_overflow 0
		.amdhsa_exception_fp_ieee_invalid_op 0
		.amdhsa_exception_fp_denorm_src 0
		.amdhsa_exception_fp_ieee_div_zero 0
		.amdhsa_exception_fp_ieee_overflow 0
		.amdhsa_exception_fp_ieee_underflow 0
		.amdhsa_exception_fp_ieee_inexact 0
		.amdhsa_exception_int_div_zero 0
	.end_amdhsa_kernel
	.text
.Lfunc_end54:
	.size	naive_conv_ab_packed_fwd_ncdhw_int8_t_int32_t_int32_t, .Lfunc_end54-naive_conv_ab_packed_fwd_ncdhw_int8_t_int32_t_int32_t
                                        ; -- End function
	.set naive_conv_ab_packed_fwd_ncdhw_int8_t_int32_t_int32_t.num_vgpr, 22
	.set naive_conv_ab_packed_fwd_ncdhw_int8_t_int32_t_int32_t.num_agpr, 0
	.set naive_conv_ab_packed_fwd_ncdhw_int8_t_int32_t_int32_t.numbered_sgpr, 74
	.set naive_conv_ab_packed_fwd_ncdhw_int8_t_int32_t_int32_t.num_named_barrier, 0
	.set naive_conv_ab_packed_fwd_ncdhw_int8_t_int32_t_int32_t.private_seg_size, 0
	.set naive_conv_ab_packed_fwd_ncdhw_int8_t_int32_t_int32_t.uses_vcc, 1
	.set naive_conv_ab_packed_fwd_ncdhw_int8_t_int32_t_int32_t.uses_flat_scratch, 0
	.set naive_conv_ab_packed_fwd_ncdhw_int8_t_int32_t_int32_t.has_dyn_sized_stack, 0
	.set naive_conv_ab_packed_fwd_ncdhw_int8_t_int32_t_int32_t.has_recursion, 0
	.set naive_conv_ab_packed_fwd_ncdhw_int8_t_int32_t_int32_t.has_indirect_call, 0
	.section	.AMDGPU.csdata,"",@progbits
; Kernel info:
; codeLenInByte = 1808
; TotalNumSgprs: 78
; NumVgprs: 22
; ScratchSize: 0
; MemoryBound: 0
; FloatMode: 240
; IeeeMode: 1
; LDSByteSize: 0 bytes/workgroup (compile time only)
; SGPRBlocks: 9
; VGPRBlocks: 5
; NumSGPRsForWavesPerEU: 78
; NumVGPRsForWavesPerEU: 22
; Occupancy: 10
; WaveLimiterHint : 1
; COMPUTE_PGM_RSRC2:SCRATCH_EN: 0
; COMPUTE_PGM_RSRC2:USER_SGPR: 6
; COMPUTE_PGM_RSRC2:TRAP_HANDLER: 0
; COMPUTE_PGM_RSRC2:TGID_X_EN: 1
; COMPUTE_PGM_RSRC2:TGID_Y_EN: 0
; COMPUTE_PGM_RSRC2:TGID_Z_EN: 0
; COMPUTE_PGM_RSRC2:TIDIG_COMP_CNT: 0
	.text
	.protected	naive_conv_ab_nonpacked_fwd_ncdhw_int8_t_int32_t_int32_t ; -- Begin function naive_conv_ab_nonpacked_fwd_ncdhw_int8_t_int32_t_int32_t
	.globl	naive_conv_ab_nonpacked_fwd_ncdhw_int8_t_int32_t_int32_t
	.p2align	8
	.type	naive_conv_ab_nonpacked_fwd_ncdhw_int8_t_int32_t_int32_t,@function
naive_conv_ab_nonpacked_fwd_ncdhw_int8_t_int32_t_int32_t: ; @naive_conv_ab_nonpacked_fwd_ncdhw_int8_t_int32_t_int32_t
; %bb.0:
	s_load_dwordx16 s[8:23], s[4:5], 0xb8
	s_abs_i32 s7, s6
	s_waitcnt lgkmcnt(0)
	s_abs_i32 s1, s12
	v_cvt_f32_u32_e32 v1, s1
	s_sub_i32 s2, 0, s1
	s_mul_i32 s0, s12, s11
	s_mul_i32 s68, s16, s15
	v_rcp_iflag_f32_e32 v1, v1
	v_mul_f32_e32 v1, 0x4f7ffffe, v1
	v_cvt_u32_f32_e32 v1, v1
	v_readfirstlane_b32 s3, v1
	s_mul_i32 s2, s2, s3
	s_mul_hi_u32 s2, s3, s2
	s_add_i32 s3, s3, s2
	s_mul_hi_u32 s2, s7, s3
	s_mul_i32 s3, s2, s1
	s_sub_i32 s3, s7, s3
	s_add_i32 s24, s2, 1
	s_sub_i32 s25, s3, s1
	s_cmp_ge_u32 s3, s1
	s_cselect_b32 s2, s24, s2
	s_cselect_b32 s3, s25, s3
	s_add_i32 s24, s2, 1
	s_cmp_ge_u32 s3, s1
	s_cselect_b32 s1, s24, s2
	s_abs_i32 s34, s11
	s_abs_i32 s33, s0
	v_cvt_f32_u32_e32 v1, s34
	v_cvt_f32_u32_e32 v2, s33
	s_mul_i32 s11, s68, s14
	v_cmp_gt_i32_e32 vcc, s11, v0
	v_rcp_iflag_f32_e32 v1, v1
	v_rcp_iflag_f32_e32 v2, v2
	v_mul_f32_e32 v1, 0x4f7ffffe, v1
	v_mul_f32_e32 v2, 0x4f7ffffe, v2
	v_cvt_u32_f32_e32 v1, v1
	v_cvt_u32_f32_e32 v2, v2
	v_readfirstlane_b32 s3, v1
	v_readfirstlane_b32 s2, v2
	s_and_saveexec_b64 s[24:25], vcc
	s_cbranch_execz .LBB55_21
; %bb.1:
	s_ashr_i32 s14, s6, 31
	s_ashr_i32 s35, s12, 31
	s_xor_b32 s35, s14, s35
	s_xor_b32 s1, s1, s35
	s_sub_i32 s35, s1, s35
	s_sub_i32 s1, 0, s34
	s_mul_i32 s1, s1, s3
	s_mul_hi_u32 s1, s3, s1
	s_abs_i32 s53, s35
	s_add_i32 s3, s3, s1
	s_mul_hi_u32 s54, s53, s3
	s_ashr_i32 s55, s0, 31
	s_sub_i32 s0, 0, s33
	s_ashr_i32 s52, s35, 31
	s_mul_i32 s0, s0, s2
	s_mul_i32 s35, s35, s12
	;; [unrolled: 1-line block ×3, first 2 shown]
	s_mul_hi_u32 s0, s2, s0
	s_sub_i32 s69, s6, s35
	s_sub_i32 s6, s53, s54
	s_add_i32 s2, s2, s0
	s_sub_i32 s12, s6, s34
	s_cmp_ge_u32 s6, s34
	s_cselect_b32 s6, s12, s6
	s_sub_i32 s12, s6, s34
	s_mul_hi_u32 s56, s7, s2
	s_cmp_ge_u32 s6, s34
	s_cselect_b32 s6, s12, s6
	s_xor_b32 s12, s14, s55
	s_mul_i32 s14, s56, s33
	s_xor_b32 s6, s6, s52
	s_sub_i32 s7, s7, s14
	s_sub_i32 s6, s6, s52
	s_add_i32 s14, s56, 1
	s_sub_i32 s34, s7, s33
	s_cmp_ge_u32 s7, s33
	s_cselect_b32 s14, s14, s56
	s_cselect_b32 s7, s34, s7
	s_add_i32 s34, s14, 1
	s_load_dwordx16 s[36:51], s[4:5], 0x28
	s_load_dwordx4 s[0:3], s[4:5], 0xa8
	s_cmp_ge_u32 s7, s33
	s_cselect_b32 s7, s34, s14
	s_xor_b32 s7, s7, s12
	s_sub_i32 s14, s7, s12
	s_ashr_i32 s7, s6, 31
	s_load_dwordx8 s[24:31], s[4:5], 0x0
	s_waitcnt lgkmcnt(0)
	s_mul_i32 s12, s46, s7
	s_mul_hi_u32 s33, s46, s6
	s_add_i32 s12, s33, s12
	s_mul_i32 s33, s47, s6
	s_ashr_i32 s34, s14, 31
	s_add_i32 s12, s12, s33
	s_mul_i32 s33, s46, s6
	s_mul_i32 s35, s44, s34
	s_mul_hi_u32 s46, s44, s14
	s_add_i32 s35, s46, s35
	s_mul_i32 s45, s45, s14
	s_add_i32 s35, s35, s45
	s_add_u32 s24, s24, s33
	s_mul_i32 s44, s44, s14
	s_addc_u32 s25, s25, s12
	s_load_dwordx16 s[52:67], s[4:5], 0x68
	s_add_u32 s12, s24, s44
	s_mul_i32 s7, s2, s7
	s_mul_hi_u32 s24, s2, s6
	s_addc_u32 s33, s25, s35
	s_add_i32 s7, s24, s7
	s_mul_i32 s3, s3, s6
	s_add_i32 s3, s7, s3
	s_mul_i32 s2, s2, s6
	s_mul_i32 s6, s0, s34
	s_mul_hi_u32 s7, s0, s14
	s_add_i32 s6, s7, s6
	s_mul_i32 s1, s1, s14
	s_add_i32 s1, s6, s1
	s_waitcnt lgkmcnt(0)
	s_mul_i32 s6, s58, s34
	s_mul_hi_u32 s7, s58, s14
	s_add_i32 s6, s7, s6
	s_mul_i32 s7, s59, s14
	s_add_i32 s59, s6, s7
	s_ashr_i32 s6, s69, 31
	s_mul_i32 s7, s56, s6
	s_mul_hi_u32 s24, s56, s69
	s_add_i32 s7, s24, s7
	s_mul_i32 s24, s57, s69
	s_load_dwordx4 s[44:47], s[4:5], 0xf8
	s_add_i32 s57, s7, s24
	s_load_dwordx2 s[24:25], s[4:5], 0x20
	s_mul_i32 s6, s66, s6
	s_mul_hi_u32 s7, s66, s69
	s_add_i32 s6, s7, s6
	s_mul_i32 s7, s67, s69
	s_add_i32 s7, s6, s7
	s_lshl_b64 s[2:3], s[2:3], 2
	s_mul_i32 s0, s0, s14
	s_waitcnt lgkmcnt(0)
	s_add_u32 s2, s24, s2
	s_addc_u32 s3, s25, s3
	s_lshl_b64 s[0:1], s[0:1], 2
	s_add_u32 s2, s2, s0
	s_mul_i32 s6, s66, s69
	s_addc_u32 s3, s3, s1
	s_lshl_b64 s[0:1], s[6:7], 2
	s_add_u32 s72, s2, s0
	s_addc_u32 s73, s3, s1
	s_load_dword s74, s[4:5], 0x108
	s_load_dword s66, s[4:5], 0x11c
	s_cmp_gt_i32 s13, 0
	s_cselect_b64 s[2:3], -1, 0
	s_cmp_gt_i32 s46, 0
	s_cselect_b64 s[4:5], -1, 0
	;; [unrolled: 2-line block ×3, first 2 shown]
	s_waitcnt lgkmcnt(0)
	s_cmp_gt_i32 s74, 0
	s_cselect_b64 s[24:25], -1, 0
	s_abs_i32 s77, s68
	s_abs_i32 s79, s16
	;; [unrolled: 1-line block ×3, first 2 shown]
	v_cvt_f32_u32_e32 v1, s79
	v_cvt_f32_u32_e32 v3, s80
	;; [unrolled: 1-line block ×3, first 2 shown]
	v_cmp_neq_f64_e64 s[0:1], s[28:29], 1.0
	v_cmp_neq_f64_e64 s[34:35], s[30:31], 0
	v_rcp_iflag_f32_e32 v1, v1
	v_rcp_iflag_f32_e32 v3, v3
	v_rcp_iflag_f32_e32 v7, v7
	s_and_b32 s75, s66, 0xffff
	v_mul_f32_e32 v1, 0x4f7ffffe, v1
	v_mul_f32_e32 v3, 0x4f7ffffe, v3
	;; [unrolled: 1-line block ×3, first 2 shown]
	v_cvt_u32_f32_e32 v1, v1
	v_cvt_u32_f32_e32 v3, v3
	;; [unrolled: 1-line block ×3, first 2 shown]
	s_or_b64 s[34:35], s[0:1], s[34:35]
	s_mul_i32 s0, s58, s14
	s_mul_i32 s1, s56, s69
	s_sub_i32 s56, 0, s79
	s_sub_i32 s58, 0, s80
	;; [unrolled: 1-line block ×3, first 2 shown]
	v_mul_lo_u32 v2, s56, v1
	v_mul_lo_u32 v4, s58, v3
	;; [unrolled: 1-line block ×3, first 2 shown]
	s_ashr_i32 s76, s68, 31
	s_ashr_i32 s78, s16, 31
	v_mul_hi_u32 v2, v1, v2
	v_mul_hi_u32 v4, v3, v4
	;; [unrolled: 1-line block ×3, first 2 shown]
	s_add_u32 s0, s1, s0
	v_cvt_i32_f64_e32 v5, s[28:29]
	v_cvt_i32_f64_e32 v6, s[30:31]
	s_addc_u32 s1, s57, s59
	s_add_u32 s14, s26, s0
	s_addc_u32 s15, s27, s1
	v_add_u32_e32 v7, v1, v2
	v_mov_b32_e32 v8, 0
	v_add_u32_e32 v9, v3, v4
	v_add_u32_e32 v10, v10, v11
	s_mov_b64 s[26:27], 0
	s_branch .LBB55_3
.LBB55_2:                               ;   in Loop: Header=BB55_3 Depth=1
	v_add_u32_e32 v0, s75, v0
	v_cmp_le_i32_e32 vcc, s11, v0
	s_or_b64 s[26:27], vcc, s[26:27]
	s_andn2_b64 exec, exec, s[26:27]
	s_cbranch_execz .LBB55_21
.LBB55_3:                               ; =>This Loop Header: Depth=1
                                        ;     Child Loop BB55_6 Depth 2
                                        ;       Child Loop BB55_9 Depth 3
                                        ;         Child Loop BB55_12 Depth 4
                                        ;           Child Loop BB55_15 Depth 5
	v_sub_u32_e32 v1, 0, v0
	v_max_i32_e32 v1, v0, v1
	v_mul_hi_u32 v2, v1, v7
	v_ashrrev_i32_e32 v4, 31, v0
	v_xor_b32_e32 v11, s78, v4
	v_mul_hi_u32 v14, v1, v10
	v_mul_lo_u32 v3, v2, s79
	v_add_u32_e32 v12, 1, v2
	v_sub_u32_e32 v3, v1, v3
	v_cmp_le_u32_e32 vcc, s79, v3
	v_cndmask_b32_e32 v2, v2, v12, vcc
	v_subrev_u32_e32 v12, s79, v3
	v_cndmask_b32_e32 v3, v3, v12, vcc
	v_add_u32_e32 v12, 1, v2
	v_cmp_le_u32_e32 vcc, s79, v3
	v_cndmask_b32_e32 v2, v2, v12, vcc
	v_xor_b32_e32 v2, v2, v11
	v_sub_u32_e32 v2, v2, v11
	v_sub_u32_e32 v3, 0, v2
	v_max_i32_e32 v3, v2, v3
	v_mul_hi_u32 v11, v3, v9
	v_mul_lo_u32 v12, v2, s16
	v_ashrrev_i32_e32 v2, 31, v2
	v_mul_lo_u32 v11, v11, s80
	v_sub_u32_e32 v12, v0, v12
	v_sub_u32_e32 v3, v3, v11
	v_subrev_u32_e32 v11, s80, v3
	v_cmp_le_u32_e32 vcc, s80, v3
	v_cndmask_b32_e32 v3, v3, v11, vcc
	v_subrev_u32_e32 v11, s80, v3
	v_cmp_le_u32_e32 vcc, s80, v3
	v_cndmask_b32_e32 v3, v3, v11, vcc
	v_mul_lo_u32 v11, v14, s77
	v_xor_b32_e32 v3, v3, v2
	v_sub_u32_e32 v13, v3, v2
	v_xor_b32_e32 v2, s76, v4
	v_sub_u32_e32 v1, v1, v11
	v_add_u32_e32 v3, 1, v14
	v_cmp_le_u32_e32 vcc, s77, v1
	v_subrev_u32_e32 v4, s77, v1
	v_cndmask_b32_e32 v3, v14, v3, vcc
	v_cndmask_b32_e32 v1, v1, v4, vcc
	v_add_u32_e32 v4, 1, v3
	v_cmp_le_u32_e32 vcc, s77, v1
	v_cndmask_b32_e32 v1, v3, v4, vcc
	v_xor_b32_e32 v1, v1, v2
	v_sub_u32_e32 v14, v1, v2
	s_andn2_b64 vcc, exec, s[2:3]
	v_mov_b32_e32 v11, 0
	s_cbranch_vccnz .LBB55_17
; %bb.4:                                ;   in Loop: Header=BB55_3 Depth=1
	v_mul_lo_u32 v1, v14, s17
	v_mul_lo_u32 v2, v13, s18
	v_mul_lo_u32 v3, v12, s19
	v_mov_b32_e32 v11, 0
	v_subrev_u32_e32 v15, s23, v1
	v_subrev_u32_e32 v16, s44, v2
	;; [unrolled: 1-line block ×3, first 2 shown]
	s_mov_b32 s81, 0
	s_mov_b64 s[28:29], s[14:15]
	s_branch .LBB55_6
.LBB55_5:                               ;   in Loop: Header=BB55_6 Depth=2
	s_add_i32 s81, s81, 1
	s_add_u32 s28, s28, s54
	s_addc_u32 s29, s29, s55
	s_cmp_eq_u32 s81, s13
	s_cbranch_scc1 .LBB55_17
.LBB55_6:                               ;   Parent Loop BB55_3 Depth=1
                                        ; =>  This Loop Header: Depth=2
                                        ;       Child Loop BB55_9 Depth 3
                                        ;         Child Loop BB55_12 Depth 4
                                        ;           Child Loop BB55_15 Depth 5
	s_andn2_b64 vcc, exec, s[4:5]
	s_cbranch_vccnz .LBB55_5
; %bb.7:                                ;   in Loop: Header=BB55_6 Depth=2
	s_mul_i32 s0, s43, s81
	s_mul_hi_u32 s1, s42, s81
	s_add_i32 s1, s1, s0
	s_mul_i32 s0, s42, s81
	s_add_u32 s30, s12, s0
	s_addc_u32 s31, s33, s1
	s_mov_b32 s82, 0
	s_mov_b64 s[56:57], s[28:29]
	s_branch .LBB55_9
.LBB55_8:                               ;   in Loop: Header=BB55_9 Depth=3
	s_add_i32 s82, s82, 1
	s_add_u32 s56, s56, s52
	s_addc_u32 s57, s57, s53
	s_cmp_eq_u32 s82, s46
	s_cbranch_scc1 .LBB55_5
.LBB55_9:                               ;   Parent Loop BB55_3 Depth=1
                                        ;     Parent Loop BB55_6 Depth=2
                                        ; =>    This Loop Header: Depth=3
                                        ;         Child Loop BB55_12 Depth 4
                                        ;           Child Loop BB55_15 Depth 5
	s_andn2_b64 vcc, exec, s[6:7]
	s_cbranch_vccnz .LBB55_8
; %bb.10:                               ;   in Loop: Header=BB55_9 Depth=3
	s_mul_i32 s0, s82, s20
	v_mov_b32_e32 v1, s30
	v_add_u32_e32 v4, s0, v15
	v_mov_b32_e32 v2, s31
	v_mad_u64_u32 v[1:2], s[0:1], s40, v4, v[1:2]
	v_cmp_gt_i32_e32 vcc, 0, v4
	s_mov_b32 s83, 0
	v_mad_u64_u32 v[2:3], s[0:1], s41, v4, v[2:3]
	v_cmp_le_i32_e64 s[0:1], s8, v4
	s_or_b64 s[58:59], vcc, s[0:1]
	s_mov_b64 s[66:67], s[56:57]
	s_branch .LBB55_12
.LBB55_11:                              ;   in Loop: Header=BB55_12 Depth=4
	s_add_i32 s83, s83, 1
	s_add_u32 s66, s66, s50
	s_addc_u32 s67, s67, s51
	s_cmp_eq_u32 s83, s47
	s_cbranch_scc1 .LBB55_8
.LBB55_12:                              ;   Parent Loop BB55_3 Depth=1
                                        ;     Parent Loop BB55_6 Depth=2
                                        ;       Parent Loop BB55_9 Depth=3
                                        ; =>      This Loop Header: Depth=4
                                        ;           Child Loop BB55_15 Depth 5
	s_andn2_b64 vcc, exec, s[24:25]
	s_cbranch_vccnz .LBB55_11
; %bb.13:                               ;   in Loop: Header=BB55_12 Depth=4
	s_mul_i32 s0, s83, s21
	v_add_u32_e32 v20, s0, v16
	v_mad_u64_u32 v[3:4], s[0:1], s38, v20, v[1:2]
	v_cmp_gt_i32_e32 vcc, 0, v20
	s_mov_b64 s[70:71], s[66:67]
	v_mad_u64_u32 v[18:19], s[0:1], s39, v20, v[4:5]
	v_cmp_le_i32_e64 s[0:1], s9, v20
	s_or_b64 s[0:1], vcc, s[0:1]
	s_or_b64 s[68:69], s[58:59], s[0:1]
	v_mov_b32_e32 v4, v18
	v_mov_b32_e32 v18, v17
	s_mov_b32 s84, s74
	s_branch .LBB55_15
.LBB55_14:                              ;   in Loop: Header=BB55_15 Depth=5
	s_or_b64 exec, exec, s[0:1]
	s_add_i32 s84, s84, -1
	s_add_u32 s70, s70, s48
	s_addc_u32 s71, s71, s49
	s_cmp_eq_u32 s84, 0
	v_add_u32_e32 v18, s22, v18
	s_cbranch_scc1 .LBB55_11
.LBB55_15:                              ;   Parent Loop BB55_3 Depth=1
                                        ;     Parent Loop BB55_6 Depth=2
                                        ;       Parent Loop BB55_9 Depth=3
                                        ;         Parent Loop BB55_12 Depth=4
                                        ; =>        This Inner Loop Header: Depth=5
	v_cmp_gt_i32_e32 vcc, 0, v18
	v_cmp_le_i32_e64 s[0:1], s10, v18
	s_or_b64 s[0:1], vcc, s[0:1]
	s_nor_b64 s[86:87], s[68:69], s[0:1]
	s_and_saveexec_b64 s[0:1], s[86:87]
	s_cbranch_execz .LBB55_14
; %bb.16:                               ;   in Loop: Header=BB55_15 Depth=5
	v_mad_u64_u32 v[19:20], s[86:87], s36, v18, v[3:4]
	v_mad_u64_u32 v[20:21], s[86:87], s37, v18, v[20:21]
	global_load_sbyte v19, v[19:20], off
	s_nop 0
	global_load_sbyte v20, v8, s[70:71]
	s_waitcnt vmcnt(0)
	v_mad_i32_i24 v11, v20, v19, v11
	s_branch .LBB55_14
.LBB55_17:                              ;   in Loop: Header=BB55_3 Depth=1
	v_ashrrev_i32_e32 v1, 31, v12
	v_mul_lo_u32 v3, s61, v12
	v_mul_lo_u32 v4, s60, v1
	v_mad_u64_u32 v[1:2], s[0:1], s60, v12, 0
	v_ashrrev_i32_e32 v12, 31, v13
	s_and_b64 vcc, exec, s[34:35]
	v_add3_u32 v2, v2, v4, v3
	v_mad_u64_u32 v[1:2], s[0:1], s62, v13, v[1:2]
	v_mul_lo_u32 v3, s63, v13
	v_mul_lo_u32 v4, s62, v12
	v_ashrrev_i32_e32 v12, 31, v14
	v_add3_u32 v2, v3, v2, v4
	v_mad_u64_u32 v[1:2], s[0:1], s64, v14, v[1:2]
	v_mul_lo_u32 v3, s65, v14
	v_mul_lo_u32 v4, s64, v12
	s_mov_b64 s[0:1], -1
	v_add3_u32 v2, v3, v2, v4
	v_lshlrev_b64 v[1:2], 2, v[1:2]
	s_cbranch_vccz .LBB55_19
; %bb.18:                               ;   in Loop: Header=BB55_3 Depth=1
	v_mov_b32_e32 v4, s73
	v_add_co_u32_e32 v3, vcc, s72, v1
	v_addc_co_u32_e32 v4, vcc, v4, v2, vcc
	global_load_dword v13, v[3:4], off
	v_mul_lo_u32 v12, v11, v5
	s_waitcnt vmcnt(0)
	v_mad_u64_u32 v[12:13], s[0:1], v13, v6, v[12:13]
	s_mov_b64 s[0:1], 0
	global_store_dword v[3:4], v12, off
.LBB55_19:                              ;   in Loop: Header=BB55_3 Depth=1
	s_andn2_b64 vcc, exec, s[0:1]
	s_cbranch_vccnz .LBB55_2
; %bb.20:                               ;   in Loop: Header=BB55_3 Depth=1
	v_mov_b32_e32 v3, s73
	v_add_co_u32_e32 v1, vcc, s72, v1
	v_addc_co_u32_e32 v2, vcc, v3, v2, vcc
	global_store_dword v[1:2], v11, off
	s_branch .LBB55_2
.LBB55_21:
	s_endpgm
	.section	.rodata,"a",@progbits
	.p2align	6, 0x0
	.amdhsa_kernel naive_conv_ab_nonpacked_fwd_ncdhw_int8_t_int32_t_int32_t
		.amdhsa_group_segment_fixed_size 0
		.amdhsa_private_segment_fixed_size 0
		.amdhsa_kernarg_size 528
		.amdhsa_user_sgpr_count 6
		.amdhsa_user_sgpr_private_segment_buffer 1
		.amdhsa_user_sgpr_dispatch_ptr 0
		.amdhsa_user_sgpr_queue_ptr 0
		.amdhsa_user_sgpr_kernarg_segment_ptr 1
		.amdhsa_user_sgpr_dispatch_id 0
		.amdhsa_user_sgpr_flat_scratch_init 0
		.amdhsa_user_sgpr_private_segment_size 0
		.amdhsa_uses_dynamic_stack 0
		.amdhsa_system_sgpr_private_segment_wavefront_offset 0
		.amdhsa_system_sgpr_workgroup_id_x 1
		.amdhsa_system_sgpr_workgroup_id_y 0
		.amdhsa_system_sgpr_workgroup_id_z 0
		.amdhsa_system_sgpr_workgroup_info 0
		.amdhsa_system_vgpr_workitem_id 0
		.amdhsa_next_free_vgpr 22
		.amdhsa_next_free_sgpr 88
		.amdhsa_reserve_vcc 1
		.amdhsa_reserve_flat_scratch 0
		.amdhsa_float_round_mode_32 0
		.amdhsa_float_round_mode_16_64 0
		.amdhsa_float_denorm_mode_32 3
		.amdhsa_float_denorm_mode_16_64 3
		.amdhsa_dx10_clamp 1
		.amdhsa_ieee_mode 1
		.amdhsa_fp16_overflow 0
		.amdhsa_exception_fp_ieee_invalid_op 0
		.amdhsa_exception_fp_denorm_src 0
		.amdhsa_exception_fp_ieee_div_zero 0
		.amdhsa_exception_fp_ieee_overflow 0
		.amdhsa_exception_fp_ieee_underflow 0
		.amdhsa_exception_fp_ieee_inexact 0
		.amdhsa_exception_int_div_zero 0
	.end_amdhsa_kernel
	.text
.Lfunc_end55:
	.size	naive_conv_ab_nonpacked_fwd_ncdhw_int8_t_int32_t_int32_t, .Lfunc_end55-naive_conv_ab_nonpacked_fwd_ncdhw_int8_t_int32_t_int32_t
                                        ; -- End function
	.set naive_conv_ab_nonpacked_fwd_ncdhw_int8_t_int32_t_int32_t.num_vgpr, 22
	.set naive_conv_ab_nonpacked_fwd_ncdhw_int8_t_int32_t_int32_t.num_agpr, 0
	.set naive_conv_ab_nonpacked_fwd_ncdhw_int8_t_int32_t_int32_t.numbered_sgpr, 88
	.set naive_conv_ab_nonpacked_fwd_ncdhw_int8_t_int32_t_int32_t.num_named_barrier, 0
	.set naive_conv_ab_nonpacked_fwd_ncdhw_int8_t_int32_t_int32_t.private_seg_size, 0
	.set naive_conv_ab_nonpacked_fwd_ncdhw_int8_t_int32_t_int32_t.uses_vcc, 1
	.set naive_conv_ab_nonpacked_fwd_ncdhw_int8_t_int32_t_int32_t.uses_flat_scratch, 0
	.set naive_conv_ab_nonpacked_fwd_ncdhw_int8_t_int32_t_int32_t.has_dyn_sized_stack, 0
	.set naive_conv_ab_nonpacked_fwd_ncdhw_int8_t_int32_t_int32_t.has_recursion, 0
	.set naive_conv_ab_nonpacked_fwd_ncdhw_int8_t_int32_t_int32_t.has_indirect_call, 0
	.section	.AMDGPU.csdata,"",@progbits
; Kernel info:
; codeLenInByte = 1784
; TotalNumSgprs: 92
; NumVgprs: 22
; ScratchSize: 0
; MemoryBound: 0
; FloatMode: 240
; IeeeMode: 1
; LDSByteSize: 0 bytes/workgroup (compile time only)
; SGPRBlocks: 11
; VGPRBlocks: 5
; NumSGPRsForWavesPerEU: 92
; NumVGPRsForWavesPerEU: 22
; Occupancy: 8
; WaveLimiterHint : 1
; COMPUTE_PGM_RSRC2:SCRATCH_EN: 0
; COMPUTE_PGM_RSRC2:USER_SGPR: 6
; COMPUTE_PGM_RSRC2:TRAP_HANDLER: 0
; COMPUTE_PGM_RSRC2:TGID_X_EN: 1
; COMPUTE_PGM_RSRC2:TGID_Y_EN: 0
; COMPUTE_PGM_RSRC2:TGID_Z_EN: 0
; COMPUTE_PGM_RSRC2:TIDIG_COMP_CNT: 0
	.text
	.protected	naive_conv_ab_packed_fwd_ncdhw_int8_t_int32_t_float ; -- Begin function naive_conv_ab_packed_fwd_ncdhw_int8_t_int32_t_float
	.globl	naive_conv_ab_packed_fwd_ncdhw_int8_t_int32_t_float
	.p2align	8
	.type	naive_conv_ab_packed_fwd_ncdhw_int8_t_int32_t_float,@function
naive_conv_ab_packed_fwd_ncdhw_int8_t_int32_t_float: ; @naive_conv_ab_packed_fwd_ncdhw_int8_t_int32_t_float
; %bb.0:
	s_load_dwordx16 s[8:23], s[4:5], 0xb8
	s_abs_i32 s7, s6
	s_waitcnt lgkmcnt(0)
	s_abs_i32 s1, s12
	v_cvt_f32_u32_e32 v1, s1
	s_sub_i32 s2, 0, s1
	s_mul_i32 s0, s12, s11
	s_mul_i32 s44, s16, s15
	v_rcp_iflag_f32_e32 v1, v1
	v_mul_f32_e32 v1, 0x4f7ffffe, v1
	v_cvt_u32_f32_e32 v1, v1
	v_readfirstlane_b32 s3, v1
	s_mul_i32 s2, s2, s3
	s_mul_hi_u32 s2, s3, s2
	s_add_i32 s3, s3, s2
	s_mul_hi_u32 s2, s7, s3
	s_mul_i32 s3, s2, s1
	s_sub_i32 s3, s7, s3
	s_add_i32 s24, s2, 1
	s_sub_i32 s25, s3, s1
	s_cmp_ge_u32 s3, s1
	s_cselect_b32 s2, s24, s2
	s_cselect_b32 s3, s25, s3
	s_add_i32 s24, s2, 1
	s_cmp_ge_u32 s3, s1
	s_cselect_b32 s1, s24, s2
	s_abs_i32 s34, s11
	s_abs_i32 s33, s0
	v_cvt_f32_u32_e32 v1, s34
	v_cvt_f32_u32_e32 v2, s33
	s_mul_i32 s11, s44, s14
	v_cmp_gt_i32_e32 vcc, s11, v0
	v_rcp_iflag_f32_e32 v1, v1
	v_rcp_iflag_f32_e32 v2, v2
	v_mul_f32_e32 v1, 0x4f7ffffe, v1
	v_mul_f32_e32 v2, 0x4f7ffffe, v2
	v_cvt_u32_f32_e32 v1, v1
	v_cvt_u32_f32_e32 v2, v2
	v_readfirstlane_b32 s3, v1
	v_readfirstlane_b32 s2, v2
	s_and_saveexec_b64 s[24:25], vcc
	s_cbranch_execz .LBB56_19
; %bb.1:
	s_ashr_i32 s35, s6, 31
	s_ashr_i32 s36, s12, 31
	s_xor_b32 s36, s35, s36
	s_xor_b32 s1, s1, s36
	s_sub_i32 s40, s1, s36
	s_sub_i32 s1, 0, s34
	s_mul_i32 s1, s1, s3
	s_mul_hi_u32 s1, s3, s1
	s_ashr_i32 s45, s0, 31
	s_sub_i32 s0, 0, s33
	s_abs_i32 s42, s40
	s_add_i32 s3, s3, s1
	s_mul_i32 s0, s0, s2
	s_mul_hi_u32 s43, s42, s3
	s_mul_hi_u32 s0, s2, s0
	s_add_i32 s0, s2, s0
	s_mul_i32 s43, s43, s34
	s_load_dwordx8 s[24:31], s[4:5], 0x0
	s_ashr_i32 s41, s40, 31
	s_load_dwordx2 s[2:3], s[4:5], 0x108
	s_mul_hi_u32 s46, s7, s0
	s_load_dwordx2 s[0:1], s[4:5], 0x20
	s_load_dwordx4 s[36:39], s[4:5], 0xf8
	s_load_dword s47, s[4:5], 0x11c
	s_mul_i32 s40, s40, s12
	s_sub_i32 s4, s42, s43
	s_sub_i32 s6, s6, s40
	;; [unrolled: 1-line block ×3, first 2 shown]
	s_cmp_ge_u32 s4, s34
	s_cselect_b32 s4, s5, s4
	s_sub_i32 s5, s4, s34
	s_cmp_ge_u32 s4, s34
	s_cselect_b32 s4, s5, s4
	s_mul_i32 s5, s46, s33
	s_xor_b32 s4, s4, s41
	s_sub_i32 s5, s7, s5
	s_sub_i32 s34, s4, s41
	s_xor_b32 s4, s35, s45
	s_add_i32 s7, s46, 1
	s_sub_i32 s35, s5, s33
	s_cmp_ge_u32 s5, s33
	s_cselect_b32 s7, s7, s46
	s_cselect_b32 s5, s35, s5
	s_add_i32 s35, s7, 1
	s_cmp_ge_u32 s5, s33
	s_cselect_b32 s5, s35, s7
	s_xor_b32 s5, s5, s4
	s_waitcnt lgkmcnt(0)
	s_mul_i32 s50, s3, s12
	s_mul_i32 s3, s3, s13
	s_sub_i32 s7, s5, s4
	s_mul_hi_i32 s4, s34, s3
	s_mul_i32 s5, s34, s3
	s_ashr_i32 s3, s8, 31
	s_ashr_i32 s33, s9, 31
	;; [unrolled: 1-line block ×4, first 2 shown]
	s_mul_i32 s40, s7, s13
	s_mul_hi_i32 s35, s7, s13
	s_add_u32 s5, s40, s5
	s_mul_i32 s40, s9, s8
	s_addc_u32 s4, s35, s4
	s_mul_hi_i32 s35, s9, s8
	s_mul_i32 s41, s40, s48
	s_mul_hi_u32 s42, s40, s10
	s_add_i32 s41, s42, s41
	s_mul_i32 s35, s35, s10
	s_mul_i32 s40, s40, s10
	s_add_i32 s35, s41, s35
	s_mul_i32 s4, s40, s4
	s_mul_hi_u32 s41, s40, s5
	s_add_i32 s4, s41, s4
	s_mul_i32 s35, s35, s5
	s_add_i32 s35, s4, s35
	s_mul_i32 s40, s40, s5
	s_add_u32 s4, s24, s40
	s_addc_u32 s5, s25, s35
	s_mul_hi_i32 s24, s7, s12
	s_mul_i32 s7, s7, s12
	s_ashr_i32 s12, s38, 31
	s_ashr_i32 s49, s2, 31
	;; [unrolled: 1-line block ×3, first 2 shown]
	s_add_u32 s46, s7, s6
	s_addc_u32 s57, s24, s25
	s_mul_hi_i32 s6, s34, s50
	s_mul_i32 s34, s34, s50
	s_ashr_i32 s50, s16, 31
	s_mul_hi_i32 s7, s15, s14
	s_mul_i32 s14, s15, s14
	s_add_u32 s24, s46, s34
	s_mul_i32 s25, s14, s50
	s_mul_hi_u32 s34, s14, s16
	s_addc_u32 s6, s57, s6
	s_add_i32 s25, s34, s25
	s_mul_i32 s7, s7, s16
	s_mul_i32 s14, s14, s16
	s_add_i32 s7, s25, s7
	s_mul_i32 s6, s14, s6
	s_mul_hi_u32 s25, s14, s24
	s_add_i32 s6, s25, s6
	s_mul_i32 s7, s7, s24
	s_add_i32 s7, s6, s7
	s_mul_i32 s6, s14, s24
	s_lshl_b64 s[6:7], s[6:7], 2
	s_add_u32 s51, s0, s6
	s_addc_u32 s52, s1, s7
	s_cmp_gt_i32 s13, 0
	v_cmp_neq_f64_e64 s[0:1], s[28:29], 1.0
	v_cmp_neq_f64_e64 s[42:43], s[30:31], 0
	s_cselect_b64 s[6:7], -1, 0
	s_cmp_gt_i32 s38, 0
	s_cselect_b64 s[24:25], -1, 0
	s_cmp_gt_i32 s39, 0
	;; [unrolled: 2-line block ×3, first 2 shown]
	s_cselect_b64 s[40:41], -1, 0
	s_abs_i32 s54, s16
	s_abs_i32 s60, s44
	;; [unrolled: 1-line block ×3, first 2 shown]
	v_cvt_f32_u32_e32 v1, s54
	v_cvt_f32_u32_e32 v2, s61
	;; [unrolled: 1-line block ×3, first 2 shown]
	s_mul_i32 s55, s2, s39
	s_mul_i32 s56, s55, s38
	s_or_b64 s[42:43], s[0:1], s[42:43]
	s_mul_i32 s0, s56, s57
	s_mul_hi_u32 s1, s56, s46
	v_rcp_iflag_f32_e32 v1, v1
	v_rcp_iflag_f32_e32 v2, v2
	;; [unrolled: 1-line block ×3, first 2 shown]
	s_add_i32 s0, s1, s0
	s_mul_hi_i32 s57, s2, s39
	s_mul_i32 s1, s55, s12
	s_mul_hi_u32 s12, s55, s38
	s_add_i32 s1, s12, s1
	s_mul_i32 s12, s57, s38
	s_add_i32 s58, s1, s12
	s_mul_i32 s1, s58, s46
	v_mul_f32_e32 v1, 0x4f7ffffe, v1
	v_mul_f32_e32 v2, 0x4f7ffffe, v2
	;; [unrolled: 1-line block ×3, first 2 shown]
	s_add_i32 s0, s0, s1
	s_mul_i32 s1, s56, s46
	v_cvt_u32_f32_e32 v1, v1
	v_cvt_u32_f32_e32 v2, v2
	v_cvt_u32_f32_e32 v3, v3
	s_mul_i32 s12, s1, s45
	s_mul_hi_u32 s14, s1, s13
	s_add_i32 s12, s14, s12
	s_mul_i32 s0, s0, s13
	s_sub_i32 s14, 0, s54
	s_add_i32 s12, s12, s0
	s_ashr_i32 s59, s44, 31
	s_sub_i32 s0, 0, s61
	s_sub_i32 s44, 0, s60
	v_mul_lo_u32 v4, s14, v1
	v_mul_lo_u32 v5, s0, v2
	;; [unrolled: 1-line block ×3, first 2 shown]
	v_cvt_i32_f64_e32 v9, s[28:29]
	v_mul_hi_u32 v4, v1, v4
	v_mul_hi_u32 v5, v2, v5
	;; [unrolled: 1-line block ×3, first 2 shown]
	v_cvt_i32_f64_e32 v10, s[30:31]
	s_and_b32 s53, s47, 0xffff
	s_mul_i32 s1, s1, s13
	s_add_u32 s26, s26, s1
	s_addc_u32 s27, s27, s12
	s_mov_b32 s62, s8
	s_mov_b32 s63, s9
	;; [unrolled: 1-line block ×4, first 2 shown]
	s_mov_b64 s[8:9], 0
	v_add_u32_e32 v11, v1, v4
	v_mov_b32_e32 v12, 0
	v_add_u32_e32 v13, v2, v5
	v_add_u32_e32 v14, v3, v6
	s_branch .LBB56_3
.LBB56_2:                               ;   in Loop: Header=BB56_3 Depth=1
	v_cvt_f32_i32_e32 v3, v3
	v_add_u32_e32 v0, s53, v0
	v_cmp_le_i32_e32 vcc, s11, v0
	s_or_b64 s[8:9], vcc, s[8:9]
	global_store_dword v[1:2], v3, off
	s_andn2_b64 exec, exec, s[8:9]
	s_cbranch_execz .LBB56_19
.LBB56_3:                               ; =>This Loop Header: Depth=1
                                        ;     Child Loop BB56_6 Depth 2
                                        ;       Child Loop BB56_9 Depth 3
                                        ;         Child Loop BB56_12 Depth 4
                                        ;           Child Loop BB56_15 Depth 5
	v_sub_u32_e32 v1, 0, v0
	v_max_i32_e32 v2, v0, v1
	v_mul_hi_u32 v1, v2, v11
	v_ashrrev_i32_e32 v5, 31, v0
	v_xor_b32_e32 v4, s50, v5
	v_mul_hi_u32 v7, v2, v14
	v_mul_lo_u32 v3, v1, s54
	v_add_u32_e32 v6, 1, v1
	v_sub_u32_e32 v3, v2, v3
	v_cmp_le_u32_e32 vcc, s54, v3
	v_cndmask_b32_e32 v1, v1, v6, vcc
	v_subrev_u32_e32 v6, s54, v3
	v_cndmask_b32_e32 v3, v3, v6, vcc
	v_add_u32_e32 v6, 1, v1
	v_cmp_le_u32_e32 vcc, s54, v3
	v_cndmask_b32_e32 v1, v1, v6, vcc
	v_xor_b32_e32 v1, v1, v4
	v_sub_u32_e32 v1, v1, v4
	v_sub_u32_e32 v3, 0, v1
	v_max_i32_e32 v3, v1, v3
	v_mul_hi_u32 v4, v3, v13
	v_mul_lo_u32 v6, v1, s16
	v_ashrrev_i32_e32 v8, 31, v1
	v_mul_lo_u32 v4, v4, s61
	v_sub_u32_e32 v1, v0, v6
	v_mul_lo_u32 v6, v7, s60
	v_sub_u32_e32 v3, v3, v4
	v_subrev_u32_e32 v4, s61, v3
	v_cmp_le_u32_e32 vcc, s61, v3
	v_cndmask_b32_e32 v3, v3, v4, vcc
	v_subrev_u32_e32 v4, s61, v3
	v_cmp_le_u32_e32 vcc, s61, v3
	v_cndmask_b32_e32 v3, v3, v4, vcc
	v_xor_b32_e32 v3, v3, v8
	v_sub_u32_e32 v2, v2, v6
	v_sub_u32_e32 v4, v3, v8
	v_xor_b32_e32 v3, s59, v5
	v_add_u32_e32 v5, 1, v7
	v_cmp_le_u32_e32 vcc, s60, v2
	v_subrev_u32_e32 v6, s60, v2
	v_cndmask_b32_e32 v5, v7, v5, vcc
	v_cndmask_b32_e32 v2, v2, v6, vcc
	v_add_u32_e32 v6, 1, v5
	v_cmp_le_u32_e32 vcc, s60, v2
	v_cndmask_b32_e32 v2, v5, v6, vcc
	v_xor_b32_e32 v2, v2, v3
	v_sub_u32_e32 v2, v2, v3
	s_andn2_b64 vcc, exec, s[6:7]
	v_mov_b32_e32 v3, 0
	s_cbranch_vccnz .LBB56_17
; %bb.4:                                ;   in Loop: Header=BB56_3 Depth=1
	v_mul_lo_u32 v3, v2, s17
	v_mul_lo_u32 v5, v4, s18
	;; [unrolled: 1-line block ×3, first 2 shown]
	s_mov_b32 s66, 0
	v_subrev_u32_e32 v15, s23, v3
	v_subrev_u32_e32 v16, s36, v5
	;; [unrolled: 1-line block ×3, first 2 shown]
	v_mov_b32_e32 v3, 0
	s_mov_b64 s[12:13], s[26:27]
	s_branch .LBB56_6
.LBB56_5:                               ;   in Loop: Header=BB56_6 Depth=2
	s_add_i32 s66, s66, 1
	s_add_u32 s12, s12, s56
	s_addc_u32 s13, s13, s58
	s_cmp_eq_u32 s66, s64
	s_cbranch_scc1 .LBB56_17
.LBB56_6:                               ;   Parent Loop BB56_3 Depth=1
                                        ; =>  This Loop Header: Depth=2
                                        ;       Child Loop BB56_9 Depth 3
                                        ;         Child Loop BB56_12 Depth 4
                                        ;           Child Loop BB56_15 Depth 5
	s_andn2_b64 vcc, exec, s[24:25]
	s_cbranch_vccnz .LBB56_5
; %bb.7:                                ;   in Loop: Header=BB56_6 Depth=2
	s_mul_i32 s0, s66, s3
	s_mul_hi_u32 s1, s66, s62
	s_add_i32 s67, s1, s0
	s_mul_i32 s68, s66, s62
	s_mov_b32 s69, 0
	s_mov_b64 s[14:15], s[12:13]
	s_branch .LBB56_9
.LBB56_8:                               ;   in Loop: Header=BB56_9 Depth=3
	s_add_i32 s69, s69, 1
	s_add_u32 s14, s14, s55
	s_addc_u32 s15, s15, s57
	s_cmp_eq_u32 s69, s38
	s_cbranch_scc1 .LBB56_5
.LBB56_9:                               ;   Parent Loop BB56_3 Depth=1
                                        ;     Parent Loop BB56_6 Depth=2
                                        ; =>    This Loop Header: Depth=3
                                        ;         Child Loop BB56_12 Depth 4
                                        ;           Child Loop BB56_15 Depth 5
	s_andn2_b64 vcc, exec, s[34:35]
	s_cbranch_vccnz .LBB56_8
; %bb.10:                               ;   in Loop: Header=BB56_9 Depth=3
	s_mul_i32 s0, s69, s20
	v_add_u32_e32 v7, s0, v15
	v_mov_b32_e32 v5, s67
	v_add_co_u32_e32 v6, vcc, s68, v7
	v_addc_co_u32_e32 v5, vcc, 0, v5, vcc
	v_mul_lo_u32 v8, v5, s63
	v_mul_lo_u32 v18, v6, s33
	v_mad_u64_u32 v[5:6], s[0:1], v6, s63, 0
	v_cmp_gt_i32_e32 vcc, 0, v7
	v_cmp_le_i32_e64 s[0:1], s62, v7
	s_mov_b32 s70, 0
	s_or_b64 s[28:29], vcc, s[0:1]
	v_add3_u32 v6, v6, v18, v8
	s_mov_b64 s[30:31], s[14:15]
	s_branch .LBB56_12
.LBB56_11:                              ;   in Loop: Header=BB56_12 Depth=4
	s_add_i32 s70, s70, 1
	s_add_u32 s30, s30, s2
	s_addc_u32 s31, s31, s49
	s_cmp_eq_u32 s70, s39
	s_cbranch_scc1 .LBB56_8
.LBB56_12:                              ;   Parent Loop BB56_3 Depth=1
                                        ;     Parent Loop BB56_6 Depth=2
                                        ;       Parent Loop BB56_9 Depth=3
                                        ; =>      This Loop Header: Depth=4
                                        ;           Child Loop BB56_15 Depth 5
	s_andn2_b64 vcc, exec, s[40:41]
	s_cbranch_vccnz .LBB56_11
; %bb.13:                               ;   in Loop: Header=BB56_12 Depth=4
	s_mul_i32 s0, s70, s21
	v_add_u32_e32 v18, s0, v16
	v_add_co_u32_e64 v19, s[0:1], v5, v18
	v_addc_co_u32_e64 v7, s[0:1], 0, v6, s[0:1]
	v_mul_lo_u32 v21, v7, s10
	v_mov_b32_e32 v8, s5
	v_mov_b32_e32 v7, s4
	v_mul_lo_u32 v20, v19, s48
	v_mad_u64_u32 v[7:8], s[0:1], v19, s10, v[7:8]
	v_cmp_gt_i32_e32 vcc, 0, v18
	v_cmp_le_i32_e64 s[0:1], s63, v18
	s_or_b64 s[0:1], vcc, s[0:1]
	s_or_b64 s[44:45], s[28:29], s[0:1]
	v_add3_u32 v8, v21, v8, v20
	v_mov_b32_e32 v18, v17
	s_mov_b64 s[46:47], s[30:31]
	s_mov_b32 s71, s2
	s_branch .LBB56_15
.LBB56_14:                              ;   in Loop: Header=BB56_15 Depth=5
	s_or_b64 exec, exec, s[0:1]
	s_add_i32 s71, s71, -1
	s_add_u32 s46, s46, 1
	s_addc_u32 s47, s47, 0
	s_cmp_eq_u32 s71, 0
	v_add_u32_e32 v18, s22, v18
	s_cbranch_scc1 .LBB56_11
.LBB56_15:                              ;   Parent Loop BB56_3 Depth=1
                                        ;     Parent Loop BB56_6 Depth=2
                                        ;       Parent Loop BB56_9 Depth=3
                                        ;         Parent Loop BB56_12 Depth=4
                                        ; =>        This Inner Loop Header: Depth=5
	v_cmp_gt_i32_e32 vcc, 0, v18
	v_cmp_le_i32_e64 s[0:1], s10, v18
	s_or_b64 s[0:1], vcc, s[0:1]
	s_nor_b64 s[72:73], s[44:45], s[0:1]
	s_and_saveexec_b64 s[0:1], s[72:73]
	s_cbranch_execz .LBB56_14
; %bb.16:                               ;   in Loop: Header=BB56_15 Depth=5
	v_add_co_u32_e32 v19, vcc, v7, v18
	v_addc_co_u32_e32 v20, vcc, 0, v8, vcc
	global_load_sbyte v19, v[19:20], off
	s_nop 0
	global_load_sbyte v20, v12, s[46:47]
	s_waitcnt vmcnt(0)
	v_mad_i32_i24 v3, v20, v19, v3
	s_branch .LBB56_14
.LBB56_17:                              ;   in Loop: Header=BB56_3 Depth=1
	v_ashrrev_i32_e32 v5, 31, v4
	v_mad_i64_i32 v[4:5], s[0:1], v2, s65, v[4:5]
	v_ashrrev_i32_e32 v2, 31, v1
	v_lshlrev_b64 v[1:2], 2, v[1:2]
	v_mul_lo_u32 v6, v5, s16
	v_mul_lo_u32 v7, v4, s50
	v_mad_u64_u32 v[4:5], s[0:1], v4, s16, 0
	v_mov_b32_e32 v8, s52
	v_add3_u32 v5, v5, v7, v6
	v_lshlrev_b64 v[4:5], 2, v[4:5]
	v_add_co_u32_e32 v4, vcc, s51, v4
	v_addc_co_u32_e32 v5, vcc, v8, v5, vcc
	v_add_co_u32_e64 v1, s[0:1], v4, v1
	s_andn2_b64 vcc, exec, s[42:43]
	v_addc_co_u32_e64 v2, s[0:1], v5, v2, s[0:1]
	s_cbranch_vccnz .LBB56_2
; %bb.18:                               ;   in Loop: Header=BB56_3 Depth=1
	global_load_dword v4, v[1:2], off
	v_mul_lo_u32 v3, v3, v9
	s_waitcnt vmcnt(0)
	v_cvt_i32_f32_e32 v4, v4
	v_mad_u64_u32 v[3:4], s[0:1], v4, v10, v[3:4]
	s_branch .LBB56_2
.LBB56_19:
	s_endpgm
	.section	.rodata,"a",@progbits
	.p2align	6, 0x0
	.amdhsa_kernel naive_conv_ab_packed_fwd_ncdhw_int8_t_int32_t_float
		.amdhsa_group_segment_fixed_size 0
		.amdhsa_private_segment_fixed_size 0
		.amdhsa_kernarg_size 528
		.amdhsa_user_sgpr_count 6
		.amdhsa_user_sgpr_private_segment_buffer 1
		.amdhsa_user_sgpr_dispatch_ptr 0
		.amdhsa_user_sgpr_queue_ptr 0
		.amdhsa_user_sgpr_kernarg_segment_ptr 1
		.amdhsa_user_sgpr_dispatch_id 0
		.amdhsa_user_sgpr_flat_scratch_init 0
		.amdhsa_user_sgpr_private_segment_size 0
		.amdhsa_uses_dynamic_stack 0
		.amdhsa_system_sgpr_private_segment_wavefront_offset 0
		.amdhsa_system_sgpr_workgroup_id_x 1
		.amdhsa_system_sgpr_workgroup_id_y 0
		.amdhsa_system_sgpr_workgroup_id_z 0
		.amdhsa_system_sgpr_workgroup_info 0
		.amdhsa_system_vgpr_workitem_id 0
		.amdhsa_next_free_vgpr 22
		.amdhsa_next_free_sgpr 74
		.amdhsa_reserve_vcc 1
		.amdhsa_reserve_flat_scratch 0
		.amdhsa_float_round_mode_32 0
		.amdhsa_float_round_mode_16_64 0
		.amdhsa_float_denorm_mode_32 3
		.amdhsa_float_denorm_mode_16_64 3
		.amdhsa_dx10_clamp 1
		.amdhsa_ieee_mode 1
		.amdhsa_fp16_overflow 0
		.amdhsa_exception_fp_ieee_invalid_op 0
		.amdhsa_exception_fp_denorm_src 0
		.amdhsa_exception_fp_ieee_div_zero 0
		.amdhsa_exception_fp_ieee_overflow 0
		.amdhsa_exception_fp_ieee_underflow 0
		.amdhsa_exception_fp_ieee_inexact 0
		.amdhsa_exception_int_div_zero 0
	.end_amdhsa_kernel
	.text
.Lfunc_end56:
	.size	naive_conv_ab_packed_fwd_ncdhw_int8_t_int32_t_float, .Lfunc_end56-naive_conv_ab_packed_fwd_ncdhw_int8_t_int32_t_float
                                        ; -- End function
	.set naive_conv_ab_packed_fwd_ncdhw_int8_t_int32_t_float.num_vgpr, 22
	.set naive_conv_ab_packed_fwd_ncdhw_int8_t_int32_t_float.num_agpr, 0
	.set naive_conv_ab_packed_fwd_ncdhw_int8_t_int32_t_float.numbered_sgpr, 74
	.set naive_conv_ab_packed_fwd_ncdhw_int8_t_int32_t_float.num_named_barrier, 0
	.set naive_conv_ab_packed_fwd_ncdhw_int8_t_int32_t_float.private_seg_size, 0
	.set naive_conv_ab_packed_fwd_ncdhw_int8_t_int32_t_float.uses_vcc, 1
	.set naive_conv_ab_packed_fwd_ncdhw_int8_t_int32_t_float.uses_flat_scratch, 0
	.set naive_conv_ab_packed_fwd_ncdhw_int8_t_int32_t_float.has_dyn_sized_stack, 0
	.set naive_conv_ab_packed_fwd_ncdhw_int8_t_int32_t_float.has_recursion, 0
	.set naive_conv_ab_packed_fwd_ncdhw_int8_t_int32_t_float.has_indirect_call, 0
	.section	.AMDGPU.csdata,"",@progbits
; Kernel info:
; codeLenInByte = 1804
; TotalNumSgprs: 78
; NumVgprs: 22
; ScratchSize: 0
; MemoryBound: 0
; FloatMode: 240
; IeeeMode: 1
; LDSByteSize: 0 bytes/workgroup (compile time only)
; SGPRBlocks: 9
; VGPRBlocks: 5
; NumSGPRsForWavesPerEU: 78
; NumVGPRsForWavesPerEU: 22
; Occupancy: 10
; WaveLimiterHint : 1
; COMPUTE_PGM_RSRC2:SCRATCH_EN: 0
; COMPUTE_PGM_RSRC2:USER_SGPR: 6
; COMPUTE_PGM_RSRC2:TRAP_HANDLER: 0
; COMPUTE_PGM_RSRC2:TGID_X_EN: 1
; COMPUTE_PGM_RSRC2:TGID_Y_EN: 0
; COMPUTE_PGM_RSRC2:TGID_Z_EN: 0
; COMPUTE_PGM_RSRC2:TIDIG_COMP_CNT: 0
	.text
	.protected	naive_conv_ab_nonpacked_fwd_ncdhw_int8_t_int32_t_float ; -- Begin function naive_conv_ab_nonpacked_fwd_ncdhw_int8_t_int32_t_float
	.globl	naive_conv_ab_nonpacked_fwd_ncdhw_int8_t_int32_t_float
	.p2align	8
	.type	naive_conv_ab_nonpacked_fwd_ncdhw_int8_t_int32_t_float,@function
naive_conv_ab_nonpacked_fwd_ncdhw_int8_t_int32_t_float: ; @naive_conv_ab_nonpacked_fwd_ncdhw_int8_t_int32_t_float
; %bb.0:
	s_load_dwordx16 s[8:23], s[4:5], 0xb8
	s_abs_i32 s7, s6
	s_waitcnt lgkmcnt(0)
	s_abs_i32 s1, s12
	v_cvt_f32_u32_e32 v1, s1
	s_sub_i32 s2, 0, s1
	s_mul_i32 s0, s12, s11
	s_mul_i32 s68, s16, s15
	v_rcp_iflag_f32_e32 v1, v1
	v_mul_f32_e32 v1, 0x4f7ffffe, v1
	v_cvt_u32_f32_e32 v1, v1
	v_readfirstlane_b32 s3, v1
	s_mul_i32 s2, s2, s3
	s_mul_hi_u32 s2, s3, s2
	s_add_i32 s3, s3, s2
	s_mul_hi_u32 s2, s7, s3
	s_mul_i32 s3, s2, s1
	s_sub_i32 s3, s7, s3
	s_add_i32 s24, s2, 1
	s_sub_i32 s25, s3, s1
	s_cmp_ge_u32 s3, s1
	s_cselect_b32 s2, s24, s2
	s_cselect_b32 s3, s25, s3
	s_add_i32 s24, s2, 1
	s_cmp_ge_u32 s3, s1
	s_cselect_b32 s1, s24, s2
	s_abs_i32 s34, s11
	s_abs_i32 s33, s0
	v_cvt_f32_u32_e32 v1, s34
	v_cvt_f32_u32_e32 v2, s33
	s_mul_i32 s11, s68, s14
	v_cmp_gt_i32_e32 vcc, s11, v0
	v_rcp_iflag_f32_e32 v1, v1
	v_rcp_iflag_f32_e32 v2, v2
	v_mul_f32_e32 v1, 0x4f7ffffe, v1
	v_mul_f32_e32 v2, 0x4f7ffffe, v2
	v_cvt_u32_f32_e32 v1, v1
	v_cvt_u32_f32_e32 v2, v2
	v_readfirstlane_b32 s3, v1
	v_readfirstlane_b32 s2, v2
	s_and_saveexec_b64 s[24:25], vcc
	s_cbranch_execz .LBB57_19
; %bb.1:
	s_ashr_i32 s14, s6, 31
	s_ashr_i32 s35, s12, 31
	s_xor_b32 s35, s14, s35
	s_xor_b32 s1, s1, s35
	s_sub_i32 s35, s1, s35
	s_sub_i32 s1, 0, s34
	s_mul_i32 s1, s1, s3
	s_mul_hi_u32 s1, s3, s1
	s_abs_i32 s53, s35
	s_add_i32 s3, s3, s1
	s_mul_hi_u32 s54, s53, s3
	s_ashr_i32 s55, s0, 31
	s_sub_i32 s0, 0, s33
	s_ashr_i32 s52, s35, 31
	s_mul_i32 s0, s0, s2
	s_mul_i32 s35, s35, s12
	s_mul_i32 s54, s54, s34
	s_mul_hi_u32 s0, s2, s0
	s_sub_i32 s69, s6, s35
	s_sub_i32 s6, s53, s54
	s_add_i32 s2, s2, s0
	s_sub_i32 s12, s6, s34
	s_cmp_ge_u32 s6, s34
	s_cselect_b32 s6, s12, s6
	s_sub_i32 s12, s6, s34
	s_mul_hi_u32 s56, s7, s2
	s_cmp_ge_u32 s6, s34
	s_cselect_b32 s6, s12, s6
	s_xor_b32 s12, s14, s55
	s_mul_i32 s14, s56, s33
	s_xor_b32 s6, s6, s52
	s_sub_i32 s7, s7, s14
	s_sub_i32 s6, s6, s52
	s_add_i32 s14, s56, 1
	s_sub_i32 s34, s7, s33
	s_cmp_ge_u32 s7, s33
	s_cselect_b32 s14, s14, s56
	s_cselect_b32 s7, s34, s7
	s_add_i32 s34, s14, 1
	s_load_dwordx16 s[36:51], s[4:5], 0x28
	s_load_dwordx4 s[0:3], s[4:5], 0xa8
	s_cmp_ge_u32 s7, s33
	s_cselect_b32 s7, s34, s14
	s_xor_b32 s7, s7, s12
	s_sub_i32 s14, s7, s12
	s_ashr_i32 s7, s6, 31
	s_load_dwordx8 s[24:31], s[4:5], 0x0
	s_waitcnt lgkmcnt(0)
	s_mul_i32 s12, s46, s7
	s_mul_hi_u32 s33, s46, s6
	s_add_i32 s12, s33, s12
	s_mul_i32 s33, s47, s6
	s_ashr_i32 s34, s14, 31
	s_add_i32 s12, s12, s33
	s_mul_i32 s33, s46, s6
	s_mul_i32 s35, s44, s34
	s_mul_hi_u32 s46, s44, s14
	s_add_i32 s35, s46, s35
	s_mul_i32 s45, s45, s14
	s_add_i32 s35, s35, s45
	s_add_u32 s24, s24, s33
	s_mul_i32 s44, s44, s14
	s_addc_u32 s25, s25, s12
	s_load_dwordx16 s[52:67], s[4:5], 0x68
	s_add_u32 s12, s24, s44
	s_mul_i32 s7, s2, s7
	s_mul_hi_u32 s24, s2, s6
	s_addc_u32 s33, s25, s35
	s_add_i32 s7, s24, s7
	s_mul_i32 s3, s3, s6
	s_add_i32 s3, s7, s3
	s_mul_i32 s2, s2, s6
	s_mul_i32 s6, s0, s34
	s_mul_hi_u32 s7, s0, s14
	s_add_i32 s6, s7, s6
	s_mul_i32 s1, s1, s14
	s_add_i32 s1, s6, s1
	s_waitcnt lgkmcnt(0)
	s_mul_i32 s6, s58, s34
	s_mul_hi_u32 s7, s58, s14
	s_add_i32 s6, s7, s6
	s_mul_i32 s7, s59, s14
	s_add_i32 s59, s6, s7
	s_ashr_i32 s6, s69, 31
	s_mul_i32 s7, s56, s6
	s_mul_hi_u32 s24, s56, s69
	s_add_i32 s7, s24, s7
	s_mul_i32 s24, s57, s69
	s_load_dwordx4 s[44:47], s[4:5], 0xf8
	s_add_i32 s57, s7, s24
	s_load_dwordx2 s[24:25], s[4:5], 0x20
	s_mul_i32 s6, s66, s6
	s_mul_hi_u32 s7, s66, s69
	s_add_i32 s6, s7, s6
	s_mul_i32 s7, s67, s69
	s_add_i32 s7, s6, s7
	s_lshl_b64 s[2:3], s[2:3], 2
	s_mul_i32 s0, s0, s14
	s_waitcnt lgkmcnt(0)
	s_add_u32 s2, s24, s2
	s_addc_u32 s3, s25, s3
	s_lshl_b64 s[0:1], s[0:1], 2
	s_add_u32 s2, s2, s0
	s_mul_i32 s6, s66, s69
	s_addc_u32 s3, s3, s1
	s_lshl_b64 s[0:1], s[6:7], 2
	s_add_u32 s72, s2, s0
	s_addc_u32 s73, s3, s1
	s_load_dword s74, s[4:5], 0x108
	s_load_dword s66, s[4:5], 0x11c
	s_cmp_gt_i32 s13, 0
	s_cselect_b64 s[2:3], -1, 0
	s_cmp_gt_i32 s46, 0
	s_cselect_b64 s[4:5], -1, 0
	;; [unrolled: 2-line block ×3, first 2 shown]
	s_waitcnt lgkmcnt(0)
	s_cmp_gt_i32 s74, 0
	s_cselect_b64 s[24:25], -1, 0
	s_abs_i32 s77, s68
	s_abs_i32 s79, s16
	s_abs_i32 s80, s15
	v_cvt_f32_u32_e32 v1, s79
	v_cvt_f32_u32_e32 v3, s80
	;; [unrolled: 1-line block ×3, first 2 shown]
	v_cmp_neq_f64_e64 s[0:1], s[28:29], 1.0
	v_cmp_neq_f64_e64 s[34:35], s[30:31], 0
	v_rcp_iflag_f32_e32 v1, v1
	v_rcp_iflag_f32_e32 v3, v3
	;; [unrolled: 1-line block ×3, first 2 shown]
	s_and_b32 s75, s66, 0xffff
	v_mul_f32_e32 v1, 0x4f7ffffe, v1
	v_mul_f32_e32 v3, 0x4f7ffffe, v3
	;; [unrolled: 1-line block ×3, first 2 shown]
	v_cvt_u32_f32_e32 v1, v1
	v_cvt_u32_f32_e32 v3, v3
	;; [unrolled: 1-line block ×3, first 2 shown]
	s_or_b64 s[34:35], s[0:1], s[34:35]
	s_mul_i32 s0, s58, s14
	s_mul_i32 s1, s56, s69
	s_sub_i32 s56, 0, s79
	s_sub_i32 s58, 0, s80
	;; [unrolled: 1-line block ×3, first 2 shown]
	v_mul_lo_u32 v2, s56, v1
	v_mul_lo_u32 v4, s58, v3
	;; [unrolled: 1-line block ×3, first 2 shown]
	s_ashr_i32 s76, s68, 31
	s_ashr_i32 s78, s16, 31
	v_mul_hi_u32 v2, v1, v2
	v_mul_hi_u32 v4, v3, v4
	;; [unrolled: 1-line block ×3, first 2 shown]
	s_add_u32 s0, s1, s0
	v_cvt_i32_f64_e32 v6, s[28:29]
	v_cvt_i32_f64_e32 v7, s[30:31]
	s_addc_u32 s1, s57, s59
	s_add_u32 s14, s26, s0
	s_addc_u32 s15, s27, s1
	v_add_u32_e32 v8, v1, v2
	v_mov_b32_e32 v9, 0
	v_add_u32_e32 v10, v3, v4
	v_add_u32_e32 v11, v5, v11
	s_mov_b64 s[26:27], 0
	s_branch .LBB57_3
.LBB57_2:                               ;   in Loop: Header=BB57_3 Depth=1
	v_cvt_f32_i32_e32 v1, v1
	v_add_u32_e32 v0, s75, v0
	v_cmp_le_i32_e32 vcc, s11, v0
	s_or_b64 s[26:27], vcc, s[26:27]
	global_store_dword v[3:4], v1, off
	s_andn2_b64 exec, exec, s[26:27]
	s_cbranch_execz .LBB57_19
.LBB57_3:                               ; =>This Loop Header: Depth=1
                                        ;     Child Loop BB57_6 Depth 2
                                        ;       Child Loop BB57_9 Depth 3
                                        ;         Child Loop BB57_12 Depth 4
                                        ;           Child Loop BB57_15 Depth 5
	v_sub_u32_e32 v1, 0, v0
	v_max_i32_e32 v1, v0, v1
	v_mul_hi_u32 v2, v1, v8
	v_ashrrev_i32_e32 v4, 31, v0
	v_xor_b32_e32 v5, s78, v4
	v_mul_hi_u32 v14, v1, v11
	v_mul_lo_u32 v3, v2, s79
	v_add_u32_e32 v12, 1, v2
	v_sub_u32_e32 v3, v1, v3
	v_cmp_le_u32_e32 vcc, s79, v3
	v_cndmask_b32_e32 v2, v2, v12, vcc
	v_subrev_u32_e32 v12, s79, v3
	v_cndmask_b32_e32 v3, v3, v12, vcc
	v_add_u32_e32 v12, 1, v2
	v_cmp_le_u32_e32 vcc, s79, v3
	v_cndmask_b32_e32 v2, v2, v12, vcc
	v_xor_b32_e32 v2, v2, v5
	v_sub_u32_e32 v2, v2, v5
	v_sub_u32_e32 v3, 0, v2
	v_max_i32_e32 v3, v2, v3
	v_mul_hi_u32 v5, v3, v10
	v_mul_lo_u32 v12, v2, s16
	v_ashrrev_i32_e32 v2, 31, v2
	v_mul_lo_u32 v5, v5, s80
	v_sub_u32_e32 v12, v0, v12
	v_sub_u32_e32 v3, v3, v5
	v_subrev_u32_e32 v5, s80, v3
	v_cmp_le_u32_e32 vcc, s80, v3
	v_cndmask_b32_e32 v3, v3, v5, vcc
	v_subrev_u32_e32 v5, s80, v3
	v_cmp_le_u32_e32 vcc, s80, v3
	v_cndmask_b32_e32 v3, v3, v5, vcc
	v_mul_lo_u32 v5, v14, s77
	v_xor_b32_e32 v3, v3, v2
	v_sub_u32_e32 v13, v3, v2
	v_xor_b32_e32 v2, s76, v4
	v_sub_u32_e32 v1, v1, v5
	v_add_u32_e32 v3, 1, v14
	v_cmp_le_u32_e32 vcc, s77, v1
	v_subrev_u32_e32 v4, s77, v1
	v_cndmask_b32_e32 v3, v14, v3, vcc
	v_cndmask_b32_e32 v1, v1, v4, vcc
	v_add_u32_e32 v4, 1, v3
	v_cmp_le_u32_e32 vcc, s77, v1
	v_cndmask_b32_e32 v1, v3, v4, vcc
	v_xor_b32_e32 v1, v1, v2
	v_sub_u32_e32 v14, v1, v2
	s_andn2_b64 vcc, exec, s[2:3]
	v_mov_b32_e32 v1, 0
	s_cbranch_vccnz .LBB57_17
; %bb.4:                                ;   in Loop: Header=BB57_3 Depth=1
	v_mul_lo_u32 v1, v14, s17
	v_mul_lo_u32 v2, v13, s18
	;; [unrolled: 1-line block ×3, first 2 shown]
	s_mov_b32 s81, 0
	v_subrev_u32_e32 v15, s23, v1
	v_subrev_u32_e32 v16, s44, v2
	v_subrev_u32_e32 v17, s45, v3
	v_mov_b32_e32 v1, 0
	s_mov_b64 s[28:29], s[14:15]
	s_branch .LBB57_6
.LBB57_5:                               ;   in Loop: Header=BB57_6 Depth=2
	s_add_i32 s81, s81, 1
	s_add_u32 s28, s28, s54
	s_addc_u32 s29, s29, s55
	s_cmp_eq_u32 s81, s13
	s_cbranch_scc1 .LBB57_17
.LBB57_6:                               ;   Parent Loop BB57_3 Depth=1
                                        ; =>  This Loop Header: Depth=2
                                        ;       Child Loop BB57_9 Depth 3
                                        ;         Child Loop BB57_12 Depth 4
                                        ;           Child Loop BB57_15 Depth 5
	s_andn2_b64 vcc, exec, s[4:5]
	s_cbranch_vccnz .LBB57_5
; %bb.7:                                ;   in Loop: Header=BB57_6 Depth=2
	s_mul_i32 s0, s43, s81
	s_mul_hi_u32 s1, s42, s81
	s_add_i32 s1, s1, s0
	s_mul_i32 s0, s42, s81
	s_add_u32 s30, s12, s0
	s_addc_u32 s31, s33, s1
	s_mov_b32 s82, 0
	s_mov_b64 s[56:57], s[28:29]
	s_branch .LBB57_9
.LBB57_8:                               ;   in Loop: Header=BB57_9 Depth=3
	s_add_i32 s82, s82, 1
	s_add_u32 s56, s56, s52
	s_addc_u32 s57, s57, s53
	s_cmp_eq_u32 s82, s46
	s_cbranch_scc1 .LBB57_5
.LBB57_9:                               ;   Parent Loop BB57_3 Depth=1
                                        ;     Parent Loop BB57_6 Depth=2
                                        ; =>    This Loop Header: Depth=3
                                        ;         Child Loop BB57_12 Depth 4
                                        ;           Child Loop BB57_15 Depth 5
	s_andn2_b64 vcc, exec, s[6:7]
	s_cbranch_vccnz .LBB57_8
; %bb.10:                               ;   in Loop: Header=BB57_9 Depth=3
	s_mul_i32 s0, s82, s20
	v_mov_b32_e32 v2, s30
	v_add_u32_e32 v5, s0, v15
	v_mov_b32_e32 v3, s31
	v_mad_u64_u32 v[2:3], s[0:1], s40, v5, v[2:3]
	v_cmp_gt_i32_e32 vcc, 0, v5
	s_mov_b32 s83, 0
	v_mad_u64_u32 v[3:4], s[0:1], s41, v5, v[3:4]
	v_cmp_le_i32_e64 s[0:1], s8, v5
	s_or_b64 s[58:59], vcc, s[0:1]
	s_mov_b64 s[66:67], s[56:57]
	s_branch .LBB57_12
.LBB57_11:                              ;   in Loop: Header=BB57_12 Depth=4
	s_add_i32 s83, s83, 1
	s_add_u32 s66, s66, s50
	s_addc_u32 s67, s67, s51
	s_cmp_eq_u32 s83, s47
	s_cbranch_scc1 .LBB57_8
.LBB57_12:                              ;   Parent Loop BB57_3 Depth=1
                                        ;     Parent Loop BB57_6 Depth=2
                                        ;       Parent Loop BB57_9 Depth=3
                                        ; =>      This Loop Header: Depth=4
                                        ;           Child Loop BB57_15 Depth 5
	s_andn2_b64 vcc, exec, s[24:25]
	s_cbranch_vccnz .LBB57_11
; %bb.13:                               ;   in Loop: Header=BB57_12 Depth=4
	s_mul_i32 s0, s83, s21
	v_add_u32_e32 v20, s0, v16
	v_mad_u64_u32 v[4:5], s[0:1], s38, v20, v[2:3]
	v_cmp_gt_i32_e32 vcc, 0, v20
	s_mov_b64 s[70:71], s[66:67]
	v_mad_u64_u32 v[18:19], s[0:1], s39, v20, v[5:6]
	v_cmp_le_i32_e64 s[0:1], s9, v20
	s_or_b64 s[0:1], vcc, s[0:1]
	s_or_b64 s[68:69], s[58:59], s[0:1]
	v_mov_b32_e32 v5, v18
	v_mov_b32_e32 v18, v17
	s_mov_b32 s84, s74
	s_branch .LBB57_15
.LBB57_14:                              ;   in Loop: Header=BB57_15 Depth=5
	s_or_b64 exec, exec, s[0:1]
	s_add_i32 s84, s84, -1
	s_add_u32 s70, s70, s48
	s_addc_u32 s71, s71, s49
	s_cmp_eq_u32 s84, 0
	v_add_u32_e32 v18, s22, v18
	s_cbranch_scc1 .LBB57_11
.LBB57_15:                              ;   Parent Loop BB57_3 Depth=1
                                        ;     Parent Loop BB57_6 Depth=2
                                        ;       Parent Loop BB57_9 Depth=3
                                        ;         Parent Loop BB57_12 Depth=4
                                        ; =>        This Inner Loop Header: Depth=5
	v_cmp_gt_i32_e32 vcc, 0, v18
	v_cmp_le_i32_e64 s[0:1], s10, v18
	s_or_b64 s[0:1], vcc, s[0:1]
	s_nor_b64 s[86:87], s[68:69], s[0:1]
	s_and_saveexec_b64 s[0:1], s[86:87]
	s_cbranch_execz .LBB57_14
; %bb.16:                               ;   in Loop: Header=BB57_15 Depth=5
	v_mad_u64_u32 v[19:20], s[86:87], s36, v18, v[4:5]
	v_mad_u64_u32 v[20:21], s[86:87], s37, v18, v[20:21]
	global_load_sbyte v19, v[19:20], off
	s_nop 0
	global_load_sbyte v20, v9, s[70:71]
	s_waitcnt vmcnt(0)
	v_mad_i32_i24 v1, v20, v19, v1
	s_branch .LBB57_14
.LBB57_17:                              ;   in Loop: Header=BB57_3 Depth=1
	v_ashrrev_i32_e32 v2, 31, v14
	v_ashrrev_i32_e32 v4, 31, v13
	v_mul_lo_u32 v15, s65, v14
	v_mul_lo_u32 v16, s64, v2
	v_mad_u64_u32 v[2:3], s[0:1], s64, v14, 0
	v_mul_lo_u32 v14, s63, v13
	v_mul_lo_u32 v17, s62, v4
	v_mad_u64_u32 v[4:5], s[0:1], s62, v13, 0
	v_ashrrev_i32_e32 v13, 31, v12
	v_mul_lo_u32 v18, s61, v12
	v_mul_lo_u32 v19, s60, v13
	v_mad_u64_u32 v[12:13], s[0:1], s60, v12, 0
	v_add3_u32 v5, v5, v17, v14
	v_lshlrev_b64 v[4:5], 2, v[4:5]
	v_add3_u32 v3, v3, v16, v15
	v_add3_u32 v13, v13, v19, v18
	v_mov_b32_e32 v14, s73
	v_add_co_u32_e32 v15, vcc, s72, v4
	v_addc_co_u32_e32 v14, vcc, v14, v5, vcc
	v_lshlrev_b64 v[4:5], 2, v[12:13]
	v_add_co_u32_e32 v12, vcc, v15, v4
	v_lshlrev_b64 v[3:4], 2, v[2:3]
	v_addc_co_u32_e32 v5, vcc, v14, v5, vcc
	v_add_co_u32_e64 v3, s[0:1], v12, v3
	s_andn2_b64 vcc, exec, s[34:35]
	v_addc_co_u32_e64 v4, s[0:1], v5, v4, s[0:1]
	s_cbranch_vccnz .LBB57_2
; %bb.18:                               ;   in Loop: Header=BB57_3 Depth=1
	global_load_dword v2, v[3:4], off
	v_mul_lo_u32 v1, v1, v6
	s_waitcnt vmcnt(0)
	v_cvt_i32_f32_e32 v2, v2
	v_mad_u64_u32 v[1:2], s[0:1], v2, v7, v[1:2]
	s_branch .LBB57_2
.LBB57_19:
	s_endpgm
	.section	.rodata,"a",@progbits
	.p2align	6, 0x0
	.amdhsa_kernel naive_conv_ab_nonpacked_fwd_ncdhw_int8_t_int32_t_float
		.amdhsa_group_segment_fixed_size 0
		.amdhsa_private_segment_fixed_size 0
		.amdhsa_kernarg_size 528
		.amdhsa_user_sgpr_count 6
		.amdhsa_user_sgpr_private_segment_buffer 1
		.amdhsa_user_sgpr_dispatch_ptr 0
		.amdhsa_user_sgpr_queue_ptr 0
		.amdhsa_user_sgpr_kernarg_segment_ptr 1
		.amdhsa_user_sgpr_dispatch_id 0
		.amdhsa_user_sgpr_flat_scratch_init 0
		.amdhsa_user_sgpr_private_segment_size 0
		.amdhsa_uses_dynamic_stack 0
		.amdhsa_system_sgpr_private_segment_wavefront_offset 0
		.amdhsa_system_sgpr_workgroup_id_x 1
		.amdhsa_system_sgpr_workgroup_id_y 0
		.amdhsa_system_sgpr_workgroup_id_z 0
		.amdhsa_system_sgpr_workgroup_info 0
		.amdhsa_system_vgpr_workitem_id 0
		.amdhsa_next_free_vgpr 22
		.amdhsa_next_free_sgpr 88
		.amdhsa_reserve_vcc 1
		.amdhsa_reserve_flat_scratch 0
		.amdhsa_float_round_mode_32 0
		.amdhsa_float_round_mode_16_64 0
		.amdhsa_float_denorm_mode_32 3
		.amdhsa_float_denorm_mode_16_64 3
		.amdhsa_dx10_clamp 1
		.amdhsa_ieee_mode 1
		.amdhsa_fp16_overflow 0
		.amdhsa_exception_fp_ieee_invalid_op 0
		.amdhsa_exception_fp_denorm_src 0
		.amdhsa_exception_fp_ieee_div_zero 0
		.amdhsa_exception_fp_ieee_overflow 0
		.amdhsa_exception_fp_ieee_underflow 0
		.amdhsa_exception_fp_ieee_inexact 0
		.amdhsa_exception_int_div_zero 0
	.end_amdhsa_kernel
	.text
.Lfunc_end57:
	.size	naive_conv_ab_nonpacked_fwd_ncdhw_int8_t_int32_t_float, .Lfunc_end57-naive_conv_ab_nonpacked_fwd_ncdhw_int8_t_int32_t_float
                                        ; -- End function
	.set naive_conv_ab_nonpacked_fwd_ncdhw_int8_t_int32_t_float.num_vgpr, 22
	.set naive_conv_ab_nonpacked_fwd_ncdhw_int8_t_int32_t_float.num_agpr, 0
	.set naive_conv_ab_nonpacked_fwd_ncdhw_int8_t_int32_t_float.numbered_sgpr, 88
	.set naive_conv_ab_nonpacked_fwd_ncdhw_int8_t_int32_t_float.num_named_barrier, 0
	.set naive_conv_ab_nonpacked_fwd_ncdhw_int8_t_int32_t_float.private_seg_size, 0
	.set naive_conv_ab_nonpacked_fwd_ncdhw_int8_t_int32_t_float.uses_vcc, 1
	.set naive_conv_ab_nonpacked_fwd_ncdhw_int8_t_int32_t_float.uses_flat_scratch, 0
	.set naive_conv_ab_nonpacked_fwd_ncdhw_int8_t_int32_t_float.has_dyn_sized_stack, 0
	.set naive_conv_ab_nonpacked_fwd_ncdhw_int8_t_int32_t_float.has_recursion, 0
	.set naive_conv_ab_nonpacked_fwd_ncdhw_int8_t_int32_t_float.has_indirect_call, 0
	.section	.AMDGPU.csdata,"",@progbits
; Kernel info:
; codeLenInByte = 1796
; TotalNumSgprs: 92
; NumVgprs: 22
; ScratchSize: 0
; MemoryBound: 0
; FloatMode: 240
; IeeeMode: 1
; LDSByteSize: 0 bytes/workgroup (compile time only)
; SGPRBlocks: 11
; VGPRBlocks: 5
; NumSGPRsForWavesPerEU: 92
; NumVGPRsForWavesPerEU: 22
; Occupancy: 8
; WaveLimiterHint : 1
; COMPUTE_PGM_RSRC2:SCRATCH_EN: 0
; COMPUTE_PGM_RSRC2:USER_SGPR: 6
; COMPUTE_PGM_RSRC2:TRAP_HANDLER: 0
; COMPUTE_PGM_RSRC2:TGID_X_EN: 1
; COMPUTE_PGM_RSRC2:TGID_Y_EN: 0
; COMPUTE_PGM_RSRC2:TGID_Z_EN: 0
; COMPUTE_PGM_RSRC2:TIDIG_COMP_CNT: 0
	.text
	.protected	naive_conv_ab_packed_fwd_ndhwc_float_double_float ; -- Begin function naive_conv_ab_packed_fwd_ndhwc_float_double_float
	.globl	naive_conv_ab_packed_fwd_ndhwc_float_double_float
	.p2align	8
	.type	naive_conv_ab_packed_fwd_ndhwc_float_double_float,@function
naive_conv_ab_packed_fwd_ndhwc_float_double_float: ; @naive_conv_ab_packed_fwd_ndhwc_float_double_float
; %bb.0:
	s_load_dwordx16 s[8:23], s[4:5], 0xb8
	s_abs_i32 s1, s6
	s_waitcnt lgkmcnt(0)
	s_abs_i32 s0, s14
	v_cvt_f32_u32_e32 v1, s0
	s_sub_i32 s3, 0, s0
	s_mul_i32 s2, s14, s11
	v_rcp_iflag_f32_e32 v1, v1
	v_mul_f32_e32 v1, 0x4f7ffffe, v1
	v_cvt_u32_f32_e32 v1, v1
	v_readfirstlane_b32 s7, v1
	s_mul_i32 s3, s3, s7
	s_mul_hi_u32 s3, s7, s3
	s_add_i32 s7, s7, s3
	s_mul_hi_u32 s3, s1, s7
	s_mul_i32 s7, s3, s0
	s_sub_i32 s7, s1, s7
	s_add_i32 s24, s3, 1
	s_sub_i32 s25, s7, s0
	s_cmp_ge_u32 s7, s0
	s_cselect_b32 s3, s24, s3
	s_cselect_b32 s7, s25, s7
	s_add_i32 s24, s3, 1
	s_cmp_ge_u32 s7, s0
	s_cselect_b32 s3, s24, s3
	s_abs_i32 s40, s11
	s_abs_i32 s7, s2
	v_cvt_f32_u32_e32 v1, s40
	v_cvt_f32_u32_e32 v2, s7
	s_mul_i32 s0, s16, s12
	s_mul_i32 s11, s0, s15
	v_rcp_iflag_f32_e32 v1, v1
	v_rcp_iflag_f32_e32 v2, v2
	v_cmp_gt_i32_e32 vcc, s11, v0
	v_mul_f32_e32 v1, 0x4f7ffffe, v1
	v_mul_f32_e32 v2, 0x4f7ffffe, v2
	v_cvt_u32_f32_e32 v1, v1
	v_cvt_u32_f32_e32 v2, v2
	v_readfirstlane_b32 s34, v1
	v_readfirstlane_b32 s33, v2
	s_and_saveexec_b64 s[24:25], vcc
	s_cbranch_execz .LBB58_21
; %bb.1:
	s_ashr_i32 s41, s6, 31
	s_ashr_i32 s35, s14, 31
	s_xor_b32 s35, s41, s35
	s_xor_b32 s3, s3, s35
	s_sub_i32 s42, s3, s35
	s_sub_i32 s3, 0, s40
	s_mul_i32 s3, s3, s34
	s_mul_hi_u32 s3, s34, s3
	s_abs_i32 s44, s42
	s_add_i32 s34, s34, s3
	s_ashr_i32 s46, s2, 31
	s_sub_i32 s2, 0, s7
	s_mul_hi_u32 s45, s44, s34
	s_mul_i32 s2, s2, s33
	s_mul_hi_u32 s2, s33, s2
	s_mul_i32 s45, s45, s40
	s_load_dwordx8 s[24:31], s[4:5], 0x0
	s_ashr_i32 s43, s42, 31
	s_add_i32 s33, s33, s2
	s_load_dwordx2 s[34:35], s[4:5], 0x108
	s_load_dwordx2 s[2:3], s[4:5], 0x20
	s_load_dwordx4 s[36:39], s[4:5], 0xf8
	s_load_dword s48, s[4:5], 0x11c
	s_mul_i32 s42, s42, s14
	s_sub_i32 s4, s44, s45
	s_sub_i32 s42, s6, s42
	;; [unrolled: 1-line block ×3, first 2 shown]
	s_cmp_ge_u32 s4, s40
	s_cselect_b32 s4, s5, s4
	s_sub_i32 s5, s4, s40
	s_mul_hi_u32 s47, s1, s33
	s_cmp_ge_u32 s4, s40
	s_cselect_b32 s4, s5, s4
	s_mul_i32 s5, s47, s7
	s_xor_b32 s4, s4, s43
	s_sub_i32 s1, s1, s5
	s_sub_i32 s49, s4, s43
	s_xor_b32 s4, s41, s46
	s_add_i32 s5, s47, 1
	s_sub_i32 s6, s1, s7
	s_cmp_ge_u32 s1, s7
	s_cselect_b32 s5, s5, s47
	s_cselect_b32 s1, s6, s1
	s_add_i32 s6, s5, 1
	s_cmp_ge_u32 s1, s7
	s_cselect_b32 s1, s6, s5
	s_waitcnt lgkmcnt(0)
	s_mul_i32 s33, s35, s12
	s_mul_i32 s35, s35, s13
	s_xor_b32 s1, s1, s4
	s_sub_i32 s50, s1, s4
	s_ashr_i32 s51, s49, 31
	s_ashr_i32 s52, s8, 31
	;; [unrolled: 1-line block ×7, first 2 shown]
	s_mul_hi_i32 s6, s49, s14
	s_mul_i32 s7, s49, s14
	s_ashr_i32 s63, s33, 31
	s_ashr_i32 s14, s42, 31
	s_add_u32 s40, s7, s42
	s_addc_u32 s6, s6, s14
	s_mul_i32 s14, s16, s15
	s_mul_hi_i32 s7, s16, s15
	s_mul_hi_u32 s15, s14, s33
	s_mul_i32 s41, s14, s63
	s_add_i32 s15, s15, s41
	s_mul_i32 s7, s7, s33
	s_mul_i32 s14, s14, s33
	s_add_i32 s7, s15, s7
	s_mul_i32 s6, s14, s6
	s_mul_hi_u32 s15, s14, s40
	s_add_i32 s6, s15, s6
	s_mul_i32 s7, s7, s40
	s_add_i32 s7, s6, s7
	s_mul_i32 s6, s14, s40
	s_lshl_b64 s[6:7], s[6:7], 2
	s_mul_hi_i32 s5, s50, s12
	s_mul_i32 s4, s50, s12
	s_add_u32 s2, s2, s6
	s_addc_u32 s3, s3, s7
	s_lshl_b64 s[6:7], s[4:5], 2
	s_add_u32 s64, s2, s6
	s_addc_u32 s65, s3, s7
	s_cmp_lt_i32 s38, 1
	s_mul_i32 s42, s42, s17
	s_cselect_b64 s[14:15], -1, 0
	s_sub_i32 s17, s42, s23
	s_cmp_gt_i32 s39, 0
	s_cselect_b64 s[40:41], -1, 0
	s_cmp_gt_i32 s34, 0
	s_cselect_b64 s[42:43], -1, 0
	s_cmp_gt_i32 s13, 0
	s_cselect_b64 s[44:45], -1, 0
	s_abs_i32 s67, s0
	s_abs_i32 s69, s12
	;; [unrolled: 1-line block ×3, first 2 shown]
	v_cvt_f32_u32_e32 v1, s69
	v_cvt_f32_u32_e32 v2, s70
	;; [unrolled: 1-line block ×3, first 2 shown]
	v_cmp_neq_f64_e64 s[2:3], s[28:29], 1.0
	v_cmp_neq_f64_e64 s[4:5], s[30:31], 0
	v_rcp_iflag_f32_e32 v1, v1
	v_rcp_iflag_f32_e32 v2, v2
	;; [unrolled: 1-line block ×3, first 2 shown]
	s_and_b32 s23, s48, 0xffff
	v_mul_f32_e32 v1, 0x4f7ffffe, v1
	v_mul_f32_e32 v2, 0x4f7ffffe, v2
	;; [unrolled: 1-line block ×3, first 2 shown]
	v_cvt_u32_f32_e32 v1, v1
	v_cvt_u32_f32_e32 v2, v2
	;; [unrolled: 1-line block ×3, first 2 shown]
	s_or_b64 s[46:47], s[2:3], s[4:5]
	s_mul_hi_i32 s3, s13, s50
	s_mul_i32 s2, s13, s50
	s_ashr_i32 s66, s0, 31
	s_lshl_b64 s[2:3], s[2:3], 2
	s_ashr_i32 s68, s12, 31
	s_sub_i32 s0, 0, s69
	s_sub_i32 s4, 0, s70
	;; [unrolled: 1-line block ×3, first 2 shown]
	s_add_u32 s24, s24, s2
	s_mul_i32 s2, s10, s9
	s_addc_u32 s25, s25, s3
	s_mul_i32 s3, s2, s52
	s_mul_hi_u32 s48, s2, s8
	v_mul_lo_u32 v4, s0, v1
	v_mul_lo_u32 v5, s4, v2
	;; [unrolled: 1-line block ×3, first 2 shown]
	s_mul_i32 s0, s34, s39
	s_add_i32 s3, s48, s3
	s_mul_hi_i32 s48, s10, s9
	s_mul_i32 s4, s0, s1
	s_mul_hi_u32 s5, s0, s13
	s_mul_i32 s48, s48, s8
	s_mul_i32 s2, s2, s8
	s_add_i32 s4, s5, s4
	s_mul_hi_i32 s5, s34, s39
	s_add_i32 s3, s3, s48
	s_mul_i32 s48, s2, s51
	s_mul_hi_u32 s50, s2, s49
	s_mul_i32 s5, s5, s13
	s_add_i32 s48, s50, s48
	s_mul_i32 s3, s3, s49
	s_add_i32 s5, s4, s5
	s_mul_i32 s4, s0, s13
	v_mul_hi_u32 v4, v1, v4
	v_mul_hi_u32 v5, v2, v5
	;; [unrolled: 1-line block ×3, first 2 shown]
	s_add_i32 s3, s48, s3
	s_mul_i32 s0, s4, s53
	s_mul_hi_u32 s48, s4, s38
	s_mul_i32 s2, s2, s49
	s_add_i32 s0, s48, s0
	s_mul_i32 s48, s5, s38
	s_add_i32 s71, s0, s48
	s_mov_b32 s0, s13
	s_lshl_b64 s[48:49], s[2:3], 2
	s_mul_hi_i32 s3, s34, s13
	s_mul_i32 s2, s34, s13
	v_add_u32_e32 v18, v1, v4
	v_add_u32_e32 v19, v2, v5
	;; [unrolled: 1-line block ×3, first 2 shown]
	s_mul_i32 s72, s4, s38
	s_lshl_b64 s[50:51], s[4:5], 2
	s_lshl_b64 s[52:53], s[2:3], 2
	;; [unrolled: 1-line block ×3, first 2 shown]
	s_mov_b64 s[56:57], 0
	s_branch .LBB58_3
.LBB58_2:                               ;   in Loop: Header=BB58_3 Depth=1
	v_cvt_f32_f64_e32 v3, v[3:4]
	v_add_u32_e32 v0, s23, v0
	v_cmp_le_i32_e32 vcc, s11, v0
	s_or_b64 s[56:57], vcc, s[56:57]
	global_store_dword v[1:2], v3, off
	s_andn2_b64 exec, exec, s[56:57]
	s_cbranch_execz .LBB58_21
.LBB58_3:                               ; =>This Loop Header: Depth=1
                                        ;     Child Loop BB58_8 Depth 2
                                        ;       Child Loop BB58_11 Depth 3
                                        ;         Child Loop BB58_14 Depth 4
                                        ;           Child Loop BB58_17 Depth 5
	v_sub_u32_e32 v1, 0, v0
	v_max_i32_e32 v2, v0, v1
	v_mul_hi_u32 v1, v2, v18
	v_ashrrev_i32_e32 v3, 31, v0
	v_xor_b32_e32 v5, s68, v3
	s_mov_b64 s[58:59], -1
	v_mul_lo_u32 v4, v1, s69
	v_add_u32_e32 v6, 1, v1
	v_sub_u32_e32 v4, v2, v4
	v_cmp_le_u32_e32 vcc, s69, v4
	v_cndmask_b32_e32 v1, v1, v6, vcc
	v_subrev_u32_e32 v6, s69, v4
	v_cndmask_b32_e32 v4, v4, v6, vcc
	v_add_u32_e32 v6, 1, v1
	v_cmp_le_u32_e32 vcc, s69, v4
	v_cndmask_b32_e32 v1, v1, v6, vcc
	v_xor_b32_e32 v1, v1, v5
	v_sub_u32_e32 v4, v1, v5
	v_sub_u32_e32 v1, 0, v4
	v_max_i32_e32 v5, v4, v1
	v_mul_hi_u32 v1, v5, v19
	v_mul_hi_u32 v6, v2, v20
	v_mul_lo_u32 v7, v4, s12
	v_mul_lo_u32 v8, v1, s70
	;; [unrolled: 1-line block ×3, first 2 shown]
	v_sub_u32_e32 v1, v0, v7
	v_sub_u32_e32 v5, v5, v8
	v_subrev_u32_e32 v7, s70, v5
	v_cmp_le_u32_e32 vcc, s70, v5
	v_sub_u32_e32 v2, v2, v9
	v_cndmask_b32_e32 v5, v5, v7, vcc
	v_subrev_u32_e32 v7, s67, v2
	v_cmp_le_u32_e64 s[0:1], s67, v2
	v_cndmask_b32_e64 v2, v2, v7, s[0:1]
	v_cmp_le_u32_e64 s[4:5], s70, v5
	v_cmp_le_u32_e64 s[2:3], s67, v2
	s_andn2_b64 vcc, exec, s[14:15]
	s_cbranch_vccnz .LBB58_5
; %bb.4:                                ;   in Loop: Header=BB58_3 Depth=1
	v_ashrrev_i32_e32 v2, 31, v1
	s_mov_b64 s[58:59], 0
.LBB58_5:                               ;   in Loop: Header=BB58_3 Depth=1
	v_subrev_u32_e32 v7, s70, v5
	v_ashrrev_i32_e32 v4, 31, v4
	v_cndmask_b32_e64 v5, v5, v7, s[4:5]
	v_xor_b32_e32 v7, s66, v3
	v_add_u32_e32 v3, 1, v6
	v_xor_b32_e32 v5, v5, v4
	v_cndmask_b32_e64 v3, v6, v3, s[0:1]
	v_sub_u32_e32 v5, v5, v4
	v_add_u32_e32 v4, 1, v3
	v_cndmask_b32_e64 v3, v3, v4, s[2:3]
	v_xor_b32_e32 v6, v3, v7
	v_mov_b32_e32 v3, 0
	v_mov_b32_e32 v4, 0
	s_andn2_b64 vcc, exec, s[58:59]
	v_sub_u32_e32 v21, v6, v7
	s_cbranch_vccnz .LBB58_19
; %bb.6:                                ;   in Loop: Header=BB58_3 Depth=1
	v_ashrrev_i32_e32 v2, 31, v1
	v_lshlrev_b64 v[3:4], 2, v[1:2]
	v_mov_b32_e32 v6, s7
	v_add_co_u32_e32 v7, vcc, s6, v3
	v_addc_co_u32_e32 v3, vcc, v6, v4, vcc
	v_mul_lo_u32 v10, s72, v3
	v_mov_b32_e32 v3, s26
	v_mov_b32_e32 v4, s27
	v_mul_lo_u32 v8, v21, s18
	v_mul_lo_u32 v9, v5, s19
	;; [unrolled: 1-line block ×3, first 2 shown]
	v_mad_u64_u32 v[6:7], s[0:1], s72, v7, v[3:4]
	v_mov_b32_e32 v3, 0
	v_subrev_u32_e32 v22, s36, v8
	v_subrev_u32_e32 v23, s37, v9
	v_add3_u32 v7, v11, v7, v10
	s_mov_b32 s73, 0
	v_mov_b32_e32 v4, 0
	s_mov_b32 s74, s17
	s_branch .LBB58_8
.LBB58_7:                               ;   in Loop: Header=BB58_8 Depth=2
	s_add_i32 s73, s73, 1
	s_add_i32 s74, s74, s20
	v_mov_b32_e32 v8, s51
	v_add_co_u32_e32 v6, vcc, s50, v6
	s_cmp_eq_u32 s73, s38
	v_addc_co_u32_e32 v7, vcc, v7, v8, vcc
	s_cbranch_scc1 .LBB58_19
.LBB58_8:                               ;   Parent Loop BB58_3 Depth=1
                                        ; =>  This Loop Header: Depth=2
                                        ;       Child Loop BB58_11 Depth 3
                                        ;         Child Loop BB58_14 Depth 4
                                        ;           Child Loop BB58_17 Depth 5
	s_andn2_b64 vcc, exec, s[40:41]
	s_cbranch_vccnz .LBB58_7
; %bb.9:                                ;   in Loop: Header=BB58_8 Depth=2
	s_mul_i32 s0, s60, s74
	s_mul_hi_u32 s1, s9, s74
	s_add_i32 s75, s1, s0
	s_mul_i32 s0, s73, s20
	s_add_i32 s2, s0, s17
	s_cmp_lt_i32 s2, 0
	s_cselect_b64 s[0:1], -1, 0
	s_cmp_ge_i32 s2, s8
	s_cselect_b64 s[2:3], -1, 0
	v_mov_b32_e32 v9, v7
	s_mul_i32 s76, s9, s74
	s_mov_b32 s77, 0
	s_or_b64 s[2:3], s[0:1], s[2:3]
	v_mov_b32_e32 v8, v6
	v_mov_b32_e32 v24, v22
	s_branch .LBB58_11
.LBB58_10:                              ;   in Loop: Header=BB58_11 Depth=3
	s_add_i32 s77, s77, 1
	v_mov_b32_e32 v10, s53
	v_add_co_u32_e32 v8, vcc, s52, v8
	v_add_u32_e32 v24, s21, v24
	s_cmp_eq_u32 s77, s39
	v_addc_co_u32_e32 v9, vcc, v9, v10, vcc
	s_cbranch_scc1 .LBB58_7
.LBB58_11:                              ;   Parent Loop BB58_3 Depth=1
                                        ;     Parent Loop BB58_8 Depth=2
                                        ; =>    This Loop Header: Depth=3
                                        ;         Child Loop BB58_14 Depth 4
                                        ;           Child Loop BB58_17 Depth 5
	s_andn2_b64 vcc, exec, s[42:43]
	s_cbranch_vccnz .LBB58_10
; %bb.12:                               ;   in Loop: Header=BB58_11 Depth=3
	v_mov_b32_e32 v10, s75
	v_add_co_u32_e32 v11, vcc, s76, v24
	v_addc_co_u32_e32 v10, vcc, 0, v10, vcc
	v_mul_lo_u32 v12, s61, v11
	v_mul_lo_u32 v13, s10, v10
	v_mad_u64_u32 v[10:11], s[0:1], s10, v11, 0
	s_mul_i32 s0, s77, s21
	s_mov_b32 s78, 0
	v_add3_u32 v11, v11, v13, v12
	v_add_u32_e32 v12, s0, v22
	v_cmp_gt_i32_e32 vcc, 0, v12
	v_cmp_le_i32_e64 s[0:1], s9, v12
	s_or_b64 s[0:1], vcc, s[0:1]
	v_mov_b32_e32 v13, v9
	s_or_b64 s[4:5], s[2:3], s[0:1]
	v_mov_b32_e32 v12, v8
	v_mov_b32_e32 v25, v23
	s_branch .LBB58_14
.LBB58_13:                              ;   in Loop: Header=BB58_14 Depth=4
	s_add_i32 s78, s78, 1
	v_mov_b32_e32 v14, s55
	v_add_co_u32_e32 v12, vcc, s54, v12
	v_add_u32_e32 v25, s22, v25
	s_cmp_eq_u32 s78, s34
	v_addc_co_u32_e32 v13, vcc, v13, v14, vcc
	s_cbranch_scc1 .LBB58_10
.LBB58_14:                              ;   Parent Loop BB58_3 Depth=1
                                        ;     Parent Loop BB58_8 Depth=2
                                        ;       Parent Loop BB58_11 Depth=3
                                        ; =>      This Loop Header: Depth=4
                                        ;           Child Loop BB58_17 Depth 5
	s_andn2_b64 vcc, exec, s[44:45]
	s_cbranch_vccnz .LBB58_13
; %bb.15:                               ;   in Loop: Header=BB58_14 Depth=4
	v_add_co_u32_e32 v14, vcc, v10, v25
	v_addc_co_u32_e32 v15, vcc, 0, v11, vcc
	v_lshlrev_b64 v[14:15], 2, v[14:15]
	v_mov_b32_e32 v16, s49
	v_add_co_u32_e32 v17, vcc, s48, v14
	v_addc_co_u32_e32 v14, vcc, v16, v15, vcc
	v_mul_lo_u32 v16, s35, v14
	v_mov_b32_e32 v14, s24
	v_mov_b32_e32 v15, s25
	v_mul_lo_u32 v26, s62, v17
	v_mad_u64_u32 v[14:15], s[0:1], s35, v17, v[14:15]
	s_mul_i32 s0, s78, s22
	s_mov_b32 s79, s13
	v_add3_u32 v15, v26, v15, v16
	v_add_u32_e32 v16, s0, v23
	v_cmp_gt_i32_e32 vcc, 0, v16
	v_cmp_le_i32_e64 s[0:1], s10, v16
	s_or_b64 s[0:1], vcc, s[0:1]
	v_mov_b32_e32 v17, v13
	s_nor_b64 s[0:1], s[4:5], s[0:1]
	v_mov_b32_e32 v16, v12
	s_branch .LBB58_17
.LBB58_16:                              ;   in Loop: Header=BB58_17 Depth=5
	s_or_b64 exec, exec, s[58:59]
	v_add_co_u32_e32 v14, vcc, 4, v14
	v_addc_co_u32_e32 v15, vcc, 0, v15, vcc
	s_add_i32 s79, s79, -1
	v_add_co_u32_e32 v16, vcc, 4, v16
	s_cmp_eq_u32 s79, 0
	v_addc_co_u32_e32 v17, vcc, 0, v17, vcc
	s_cbranch_scc1 .LBB58_13
.LBB58_17:                              ;   Parent Loop BB58_3 Depth=1
                                        ;     Parent Loop BB58_8 Depth=2
                                        ;       Parent Loop BB58_11 Depth=3
                                        ;         Parent Loop BB58_14 Depth=4
                                        ; =>        This Inner Loop Header: Depth=5
	s_and_saveexec_b64 s[58:59], s[0:1]
	s_cbranch_execz .LBB58_16
; %bb.18:                               ;   in Loop: Header=BB58_17 Depth=5
	global_load_dword v26, v[14:15], off
	global_load_dword v28, v[16:17], off
	s_waitcnt vmcnt(1)
	v_cvt_f64_f32_e32 v[26:27], v26
	s_waitcnt vmcnt(0)
	v_cvt_f64_f32_e32 v[28:29], v28
	v_fma_f64 v[3:4], v[26:27], v[28:29], v[3:4]
	s_branch .LBB58_16
.LBB58_19:                              ;   in Loop: Header=BB58_3 Depth=1
	v_ashrrev_i32_e32 v6, 31, v5
	v_mad_i64_i32 v[5:6], s[0:1], v21, s16, v[5:6]
	v_lshlrev_b64 v[1:2], 2, v[1:2]
	v_mov_b32_e32 v9, s65
	v_mul_lo_u32 v7, v6, s33
	v_mul_lo_u32 v8, v5, s63
	v_mad_u64_u32 v[5:6], s[0:1], v5, s33, 0
	v_add3_u32 v6, v6, v8, v7
	v_lshlrev_b64 v[5:6], 2, v[5:6]
	v_add_co_u32_e32 v5, vcc, s64, v5
	v_addc_co_u32_e32 v6, vcc, v9, v6, vcc
	v_add_co_u32_e64 v1, s[0:1], v5, v1
	s_andn2_b64 vcc, exec, s[46:47]
	v_addc_co_u32_e64 v2, s[0:1], v6, v2, s[0:1]
	s_cbranch_vccnz .LBB58_2
; %bb.20:                               ;   in Loop: Header=BB58_3 Depth=1
	global_load_dword v5, v[1:2], off
	s_waitcnt vmcnt(0)
	v_cvt_f64_f32_e32 v[5:6], v5
	v_mul_f64 v[5:6], s[30:31], v[5:6]
	v_fma_f64 v[3:4], s[28:29], v[3:4], v[5:6]
	s_branch .LBB58_2
.LBB58_21:
	s_endpgm
	.section	.rodata,"a",@progbits
	.p2align	6, 0x0
	.amdhsa_kernel naive_conv_ab_packed_fwd_ndhwc_float_double_float
		.amdhsa_group_segment_fixed_size 0
		.amdhsa_private_segment_fixed_size 0
		.amdhsa_kernarg_size 528
		.amdhsa_user_sgpr_count 6
		.amdhsa_user_sgpr_private_segment_buffer 1
		.amdhsa_user_sgpr_dispatch_ptr 0
		.amdhsa_user_sgpr_queue_ptr 0
		.amdhsa_user_sgpr_kernarg_segment_ptr 1
		.amdhsa_user_sgpr_dispatch_id 0
		.amdhsa_user_sgpr_flat_scratch_init 0
		.amdhsa_user_sgpr_private_segment_size 0
		.amdhsa_uses_dynamic_stack 0
		.amdhsa_system_sgpr_private_segment_wavefront_offset 0
		.amdhsa_system_sgpr_workgroup_id_x 1
		.amdhsa_system_sgpr_workgroup_id_y 0
		.amdhsa_system_sgpr_workgroup_id_z 0
		.amdhsa_system_sgpr_workgroup_info 0
		.amdhsa_system_vgpr_workitem_id 0
		.amdhsa_next_free_vgpr 30
		.amdhsa_next_free_sgpr 80
		.amdhsa_reserve_vcc 1
		.amdhsa_reserve_flat_scratch 0
		.amdhsa_float_round_mode_32 0
		.amdhsa_float_round_mode_16_64 0
		.amdhsa_float_denorm_mode_32 3
		.amdhsa_float_denorm_mode_16_64 3
		.amdhsa_dx10_clamp 1
		.amdhsa_ieee_mode 1
		.amdhsa_fp16_overflow 0
		.amdhsa_exception_fp_ieee_invalid_op 0
		.amdhsa_exception_fp_denorm_src 0
		.amdhsa_exception_fp_ieee_div_zero 0
		.amdhsa_exception_fp_ieee_overflow 0
		.amdhsa_exception_fp_ieee_underflow 0
		.amdhsa_exception_fp_ieee_inexact 0
		.amdhsa_exception_int_div_zero 0
	.end_amdhsa_kernel
	.text
.Lfunc_end58:
	.size	naive_conv_ab_packed_fwd_ndhwc_float_double_float, .Lfunc_end58-naive_conv_ab_packed_fwd_ndhwc_float_double_float
                                        ; -- End function
	.set naive_conv_ab_packed_fwd_ndhwc_float_double_float.num_vgpr, 30
	.set naive_conv_ab_packed_fwd_ndhwc_float_double_float.num_agpr, 0
	.set naive_conv_ab_packed_fwd_ndhwc_float_double_float.numbered_sgpr, 80
	.set naive_conv_ab_packed_fwd_ndhwc_float_double_float.num_named_barrier, 0
	.set naive_conv_ab_packed_fwd_ndhwc_float_double_float.private_seg_size, 0
	.set naive_conv_ab_packed_fwd_ndhwc_float_double_float.uses_vcc, 1
	.set naive_conv_ab_packed_fwd_ndhwc_float_double_float.uses_flat_scratch, 0
	.set naive_conv_ab_packed_fwd_ndhwc_float_double_float.has_dyn_sized_stack, 0
	.set naive_conv_ab_packed_fwd_ndhwc_float_double_float.has_recursion, 0
	.set naive_conv_ab_packed_fwd_ndhwc_float_double_float.has_indirect_call, 0
	.section	.AMDGPU.csdata,"",@progbits
; Kernel info:
; codeLenInByte = 1952
; TotalNumSgprs: 84
; NumVgprs: 30
; ScratchSize: 0
; MemoryBound: 0
; FloatMode: 240
; IeeeMode: 1
; LDSByteSize: 0 bytes/workgroup (compile time only)
; SGPRBlocks: 10
; VGPRBlocks: 7
; NumSGPRsForWavesPerEU: 84
; NumVGPRsForWavesPerEU: 30
; Occupancy: 8
; WaveLimiterHint : 1
; COMPUTE_PGM_RSRC2:SCRATCH_EN: 0
; COMPUTE_PGM_RSRC2:USER_SGPR: 6
; COMPUTE_PGM_RSRC2:TRAP_HANDLER: 0
; COMPUTE_PGM_RSRC2:TGID_X_EN: 1
; COMPUTE_PGM_RSRC2:TGID_Y_EN: 0
; COMPUTE_PGM_RSRC2:TGID_Z_EN: 0
; COMPUTE_PGM_RSRC2:TIDIG_COMP_CNT: 0
	.text
	.protected	naive_conv_ab_nonpacked_fwd_ndhwc_float_double_float ; -- Begin function naive_conv_ab_nonpacked_fwd_ndhwc_float_double_float
	.globl	naive_conv_ab_nonpacked_fwd_ndhwc_float_double_float
	.p2align	8
	.type	naive_conv_ab_nonpacked_fwd_ndhwc_float_double_float,@function
naive_conv_ab_nonpacked_fwd_ndhwc_float_double_float: ; @naive_conv_ab_nonpacked_fwd_ndhwc_float_double_float
; %bb.0:
	s_load_dwordx16 s[8:23], s[4:5], 0xb8
	s_abs_i32 s3, s6
	s_waitcnt lgkmcnt(0)
	s_abs_i32 s0, s14
	v_cvt_f32_u32_e32 v1, s0
	s_sub_i32 s1, 0, s0
	s_mul_i32 s25, s14, s11
	v_rcp_iflag_f32_e32 v1, v1
	v_mul_f32_e32 v1, 0x4f7ffffe, v1
	v_cvt_u32_f32_e32 v1, v1
	v_readfirstlane_b32 s2, v1
	s_mul_i32 s1, s1, s2
	s_mul_hi_u32 s1, s2, s1
	s_add_i32 s2, s2, s1
	s_mul_hi_u32 s1, s3, s2
	s_mul_i32 s2, s1, s0
	s_sub_i32 s2, s3, s2
	s_add_i32 s7, s1, 1
	s_sub_i32 s24, s2, s0
	s_cmp_ge_u32 s2, s0
	s_cselect_b32 s1, s7, s1
	s_cselect_b32 s2, s24, s2
	s_add_i32 s7, s1, 1
	s_cmp_ge_u32 s2, s0
	s_cselect_b32 s26, s7, s1
	s_abs_i32 s24, s11
	s_abs_i32 s7, s25
	v_cvt_f32_u32_e32 v1, s24
	v_cvt_f32_u32_e32 v2, s7
	s_mul_i32 s2, s16, s12
	s_mul_i32 s11, s2, s15
	v_rcp_iflag_f32_e32 v1, v1
	v_rcp_iflag_f32_e32 v2, v2
	v_cmp_gt_i32_e32 vcc, s11, v0
	v_mul_f32_e32 v1, 0x4f7ffffe, v1
	v_mul_f32_e32 v2, 0x4f7ffffe, v2
	v_cvt_u32_f32_e32 v1, v1
	v_cvt_u32_f32_e32 v2, v2
	v_readfirstlane_b32 s27, v1
	v_readfirstlane_b32 s15, v2
	s_and_saveexec_b64 s[0:1], vcc
	s_cbranch_execz .LBB59_21
; %bb.1:
	s_ashr_i32 s34, s6, 31
	s_ashr_i32 s28, s14, 31
	s_xor_b32 s28, s34, s28
	s_xor_b32 s26, s26, s28
	s_sub_i32 s26, s26, s28
	s_sub_i32 s28, 0, s24
	s_mul_i32 s28, s28, s27
	s_mul_hi_u32 s28, s27, s28
	s_abs_i32 s52, s26
	s_add_i32 s27, s27, s28
	s_mul_hi_u32 s27, s52, s27
	s_sub_i32 s28, 0, s7
	s_ashr_i32 s35, s26, 31
	s_mul_i32 s28, s28, s15
	s_mul_i32 s26, s26, s14
	;; [unrolled: 1-line block ×3, first 2 shown]
	s_mul_hi_u32 s28, s15, s28
	s_sub_i32 s53, s6, s26
	s_sub_i32 s6, s52, s27
	s_ashr_i32 s25, s25, 31
	s_add_i32 s15, s15, s28
	s_sub_i32 s14, s6, s24
	s_cmp_ge_u32 s6, s24
	s_cselect_b32 s6, s14, s6
	s_sub_i32 s14, s6, s24
	s_mul_hi_u32 s15, s3, s15
	s_cmp_ge_u32 s6, s24
	s_cselect_b32 s6, s14, s6
	s_mul_i32 s14, s15, s7
	s_xor_b32 s6, s6, s35
	s_sub_i32 s3, s3, s14
	s_sub_i32 s82, s6, s35
	s_xor_b32 s6, s34, s25
	s_add_i32 s14, s15, 1
	s_sub_i32 s24, s3, s7
	s_cmp_ge_u32 s3, s7
	s_cselect_b32 s14, s14, s15
	s_load_dword s33, s[4:5], 0x108
	s_load_dwordx16 s[36:51], s[4:5], 0x68
	s_load_dwordx4 s[68:71], s[4:5], 0xf8
	s_load_dwordx4 s[28:31], s[4:5], 0xa8
	s_cselect_b32 s3, s24, s3
	s_add_i32 s15, s14, 1
	s_cmp_ge_u32 s3, s7
	s_cselect_b32 s3, s15, s14
	s_xor_b32 s3, s3, s6
	s_load_dwordx2 s[0:1], s[4:5], 0x20
	s_sub_i32 s3, s3, s6
	s_ashr_i32 s83, s82, 31
	s_ashr_i32 s84, s3, 31
	s_waitcnt lgkmcnt(0)
	s_mul_i32 s6, s30, s83
	s_mul_hi_u32 s7, s30, s82
	s_ashr_i32 s14, s53, 31
	s_add_i32 s6, s7, s6
	s_mul_i32 s7, s31, s82
	s_mul_i32 s14, s28, s14
	s_mul_hi_u32 s15, s28, s53
	s_mul_i32 s24, s46, s84
	s_mul_hi_u32 s25, s46, s3
	s_add_i32 s7, s6, s7
	s_mul_i32 s6, s30, s82
	s_add_i32 s14, s15, s14
	s_mul_i32 s15, s29, s53
	;; [unrolled: 2-line block ×3, first 2 shown]
	s_add_i32 s15, s14, s15
	s_add_i32 s25, s24, s25
	s_lshl_b64 s[6:7], s[6:7], 2
	s_mul_i32 s14, s28, s53
	s_mul_i32 s53, s53, s17
	s_load_dword s17, s[4:5], 0x11c
	s_add_u32 s6, s0, s6
	s_addc_u32 s7, s1, s7
	s_lshl_b64 s[0:1], s[14:15], 2
	s_mul_i32 s24, s46, s3
	s_add_u32 s6, s6, s0
	s_addc_u32 s7, s7, s1
	s_lshl_b64 s[0:1], s[24:25], 2
	s_add_u32 s74, s6, s0
	s_addc_u32 s75, s7, s1
	s_load_dwordx8 s[24:31], s[4:5], 0x0
	s_cmp_lt_i32 s70, 1
	s_cselect_b64 s[6:7], -1, 0
	s_sub_i32 s23, s53, s23
	s_cmp_gt_i32 s71, 0
	s_cselect_b64 s[14:15], -1, 0
	s_cmp_gt_i32 s33, 0
	s_cselect_b64 s[34:35], -1, 0
	s_cmp_gt_i32 s13, 0
	s_waitcnt lgkmcnt(0)
	v_cmp_neq_f64_e64 s[0:1], s[28:29], 1.0
	v_cmp_neq_f64_e64 s[52:53], s[30:31], 0
	s_cselect_b64 s[46:47], -1, 0
	s_abs_i32 s78, s2
	s_abs_i32 s80, s12
	;; [unrolled: 1-line block ×3, first 2 shown]
	v_cvt_f32_u32_e32 v1, s80
	v_cvt_f32_u32_e32 v3, s81
	;; [unrolled: 1-line block ×3, first 2 shown]
	s_or_b64 s[72:73], s[0:1], s[52:53]
	v_rcp_iflag_f32_e32 v1, v1
	v_rcp_iflag_f32_e32 v3, v3
	;; [unrolled: 1-line block ×3, first 2 shown]
	s_mul_i32 s0, s42, s84
	s_mul_hi_u32 s1, s42, s3
	s_load_dwordx16 s[52:67], s[4:5], 0x28
	s_add_i32 s0, s1, s0
	s_mul_i32 s1, s43, s3
	v_mul_f32_e32 v1, 0x4f7ffffe, v1
	v_mul_f32_e32 v3, 0x4f7ffffe, v3
	;; [unrolled: 1-line block ×3, first 2 shown]
	s_add_i32 s1, s0, s1
	s_mul_i32 s0, s42, s3
	v_cvt_u32_f32_e32 v1, v1
	v_cvt_u32_f32_e32 v3, v3
	;; [unrolled: 1-line block ×3, first 2 shown]
	s_and_b32 s76, s17, 0xffff
	s_ashr_i32 s77, s2, 31
	s_lshl_b64 s[0:1], s[0:1], 2
	s_ashr_i32 s79, s12, 31
	s_sub_i32 s85, 0, s80
	s_sub_i32 s86, 0, s81
	;; [unrolled: 1-line block ×3, first 2 shown]
	s_add_u32 s16, s26, s0
	s_addc_u32 s17, s27, s1
	s_waitcnt lgkmcnt(0)
	s_mul_i32 s0, s54, s84
	s_mul_hi_u32 s1, s54, s3
	s_add_i32 s0, s1, s0
	s_mul_i32 s1, s55, s3
	v_mul_lo_u32 v2, s85, v1
	v_mul_lo_u32 v4, s86, v3
	;; [unrolled: 1-line block ×3, first 2 shown]
	s_add_i32 s1, s0, s1
	s_mul_i32 s0, s54, s3
	s_mul_i32 s2, s62, s83
	s_mul_hi_u32 s3, s62, s82
	s_add_i32 s2, s3, s2
	s_mul_i32 s3, s63, s82
	s_add_i32 s3, s2, s3
	s_mul_i32 s2, s62, s82
	s_lshl_b64 s[0:1], s[0:1], 2
	s_lshl_b64 s[2:3], s[2:3], 2
	;; [unrolled: 1-line block ×7, first 2 shown]
	v_mul_hi_u32 v2, v1, v2
	v_mul_hi_u32 v4, v3, v4
	;; [unrolled: 1-line block ×3, first 2 shown]
	s_add_u32 s0, s0, s2
	s_addc_u32 s1, s1, s3
	s_add_u32 s64, s24, s0
	s_addc_u32 s65, s25, s1
	s_lshl_b64 s[24:25], s[60:61], 2
	s_lshl_b64 s[54:55], s[58:59], 2
	;; [unrolled: 1-line block ×4, first 2 shown]
	v_add_u32_e32 v15, v1, v2
	v_add_u32_e32 v16, v3, v4
	;; [unrolled: 1-line block ×3, first 2 shown]
	s_mov_b64 s[58:59], 0
	s_branch .LBB59_3
.LBB59_2:                               ;   in Loop: Header=BB59_3 Depth=1
	v_cvt_f32_f64_e32 v1, v[1:2]
	v_add_u32_e32 v0, s76, v0
	v_cmp_le_i32_e32 vcc, s11, v0
	s_or_b64 s[58:59], vcc, s[58:59]
	global_store_dword v[3:4], v1, off
	s_andn2_b64 exec, exec, s[58:59]
	s_cbranch_execz .LBB59_21
.LBB59_3:                               ; =>This Loop Header: Depth=1
                                        ;     Child Loop BB59_8 Depth 2
                                        ;       Child Loop BB59_11 Depth 3
                                        ;         Child Loop BB59_14 Depth 4
                                        ;           Child Loop BB59_17 Depth 5
	v_sub_u32_e32 v1, 0, v0
	v_max_i32_e32 v5, v0, v1
	v_mul_hi_u32 v2, v5, v15
	v_ashrrev_i32_e32 v1, 31, v0
	v_xor_b32_e32 v4, s79, v1
	s_mov_b64 s[60:61], -1
	v_mul_lo_u32 v3, v2, s80
	v_add_u32_e32 v6, 1, v2
                                        ; implicit-def: $vgpr19
	v_sub_u32_e32 v3, v5, v3
	v_cmp_le_u32_e32 vcc, s80, v3
	v_cndmask_b32_e32 v2, v2, v6, vcc
	v_subrev_u32_e32 v6, s80, v3
	v_cndmask_b32_e32 v3, v3, v6, vcc
	v_add_u32_e32 v6, 1, v2
	v_cmp_le_u32_e32 vcc, s80, v3
	v_cndmask_b32_e32 v2, v2, v6, vcc
	v_xor_b32_e32 v2, v2, v4
	v_sub_u32_e32 v2, v2, v4
	v_sub_u32_e32 v3, 0, v2
	v_max_i32_e32 v4, v2, v3
	v_mul_hi_u32 v6, v4, v16
	v_mul_hi_u32 v3, v5, v17
	v_mul_lo_u32 v7, v2, s12
	v_mul_lo_u32 v6, v6, s81
	;; [unrolled: 1-line block ×3, first 2 shown]
	v_sub_u32_e32 v18, v0, v7
	v_sub_u32_e32 v4, v4, v6
	v_subrev_u32_e32 v6, s81, v4
	v_cmp_le_u32_e32 vcc, s81, v4
	v_sub_u32_e32 v5, v5, v8
	v_cndmask_b32_e32 v4, v4, v6, vcc
	v_subrev_u32_e32 v6, s78, v5
	v_cmp_le_u32_e64 s[0:1], s78, v5
	v_cndmask_b32_e64 v5, v5, v6, s[0:1]
	v_cmp_le_u32_e64 s[4:5], s81, v4
	v_cmp_le_u32_e64 s[2:3], s78, v5
	s_andn2_b64 vcc, exec, s[6:7]
	s_cbranch_vccnz .LBB59_5
; %bb.4:                                ;   in Loop: Header=BB59_3 Depth=1
	v_ashrrev_i32_e32 v19, 31, v18
	s_mov_b64 s[60:61], 0
.LBB59_5:                               ;   in Loop: Header=BB59_3 Depth=1
	v_subrev_u32_e32 v5, s81, v4
	v_ashrrev_i32_e32 v2, 31, v2
	v_cndmask_b32_e64 v4, v4, v5, s[4:5]
	v_xor_b32_e32 v4, v4, v2
	v_sub_u32_e32 v20, v4, v2
	v_xor_b32_e32 v4, s77, v1
	v_add_u32_e32 v1, 1, v3
	v_cndmask_b32_e64 v1, v3, v1, s[0:1]
	v_add_u32_e32 v2, 1, v1
	v_cndmask_b32_e64 v1, v1, v2, s[2:3]
	v_xor_b32_e32 v3, v1, v4
	v_mov_b32_e32 v1, 0
	v_mov_b32_e32 v2, 0
	s_andn2_b64 vcc, exec, s[60:61]
	v_sub_u32_e32 v21, v3, v4
	s_cbranch_vccnz .LBB59_19
; %bb.6:                                ;   in Loop: Header=BB59_3 Depth=1
	v_mov_b32_e32 v1, s16
	v_ashrrev_i32_e32 v19, 31, v18
	v_mov_b32_e32 v2, s17
	v_mad_u64_u32 v[3:4], s[0:1], s26, v18, v[1:2]
	v_mul_lo_u32 v1, s27, v18
	v_mul_lo_u32 v2, s26, v19
	v_mul_lo_u32 v5, v21, s18
	v_mul_lo_u32 v6, v20, s19
	s_mov_b32 s66, 0
	v_add3_u32 v4, v1, v4, v2
	v_mov_b32_e32 v1, 0
	v_subrev_u32_e32 v22, s68, v5
	v_subrev_u32_e32 v23, s69, v6
	v_mov_b32_e32 v2, 0
	s_mov_b32 s67, s23
	s_branch .LBB59_8
.LBB59_7:                               ;   in Loop: Header=BB59_8 Depth=2
	s_add_i32 s66, s66, 1
	v_mov_b32_e32 v5, s39
	s_add_i32 s67, s67, s20
	v_add_co_u32_e32 v3, vcc, s38, v3
	s_cmp_eq_u32 s66, s70
	v_addc_co_u32_e32 v4, vcc, v4, v5, vcc
	s_cbranch_scc1 .LBB59_19
.LBB59_8:                               ;   Parent Loop BB59_3 Depth=1
                                        ; =>  This Loop Header: Depth=2
                                        ;       Child Loop BB59_11 Depth 3
                                        ;         Child Loop BB59_14 Depth 4
                                        ;           Child Loop BB59_17 Depth 5
	s_andn2_b64 vcc, exec, s[14:15]
	s_cbranch_vccnz .LBB59_7
; %bb.9:                                ;   in Loop: Header=BB59_8 Depth=2
	s_mul_i32 s0, s25, s67
	s_mul_hi_u32 s1, s24, s67
	s_add_i32 s5, s1, s0
	s_mul_i32 s0, s66, s20
	s_add_i32 s2, s0, s23
	s_cmp_lt_i32 s2, 0
	s_cselect_b64 s[0:1], -1, 0
	s_cmp_ge_i32 s2, s8
	s_cselect_b64 s[2:3], -1, 0
	s_mul_i32 s4, s24, s67
	s_or_b64 s[2:3], s[0:1], s[2:3]
	s_add_u32 s4, s64, s4
	v_mov_b32_e32 v6, v4
	s_mov_b32 s82, 0
	s_addc_u32 s5, s65, s5
	v_mov_b32_e32 v24, v22
	v_mov_b32_e32 v5, v3
	s_branch .LBB59_11
.LBB59_10:                              ;   in Loop: Header=BB59_11 Depth=3
	s_add_i32 s82, s82, 1
	v_mov_b32_e32 v7, s37
	v_add_co_u32_e32 v5, vcc, s36, v5
	v_addc_co_u32_e32 v6, vcc, v6, v7, vcc
	s_cmp_eq_u32 s82, s71
	v_add_u32_e32 v24, s21, v24
	s_cbranch_scc1 .LBB59_7
.LBB59_11:                              ;   Parent Loop BB59_3 Depth=1
                                        ;     Parent Loop BB59_8 Depth=2
                                        ; =>    This Loop Header: Depth=3
                                        ;         Child Loop BB59_14 Depth 4
                                        ;           Child Loop BB59_17 Depth 5
	s_andn2_b64 vcc, exec, s[34:35]
	s_cbranch_vccnz .LBB59_10
; %bb.12:                               ;   in Loop: Header=BB59_11 Depth=3
	v_mov_b32_e32 v8, s5
	v_mov_b32_e32 v7, s4
	v_mad_u64_u32 v[7:8], s[0:1], s54, v24, v[7:8]
	s_mul_i32 s60, s82, s21
	v_add_u32_e32 v10, s60, v22
	v_mad_u64_u32 v[8:9], s[0:1], s55, v24, v[8:9]
	v_cmp_gt_i32_e32 vcc, 0, v10
	v_cmp_le_i32_e64 s[0:1], s9, v10
	s_or_b64 s[0:1], vcc, s[0:1]
	v_mov_b32_e32 v10, v6
	s_mov_b32 s83, 0
	s_or_b64 s[60:61], s[2:3], s[0:1]
	v_mov_b32_e32 v25, v23
	v_mov_b32_e32 v9, v5
	s_branch .LBB59_14
.LBB59_13:                              ;   in Loop: Header=BB59_14 Depth=4
	s_add_i32 s83, s83, 1
	v_mov_b32_e32 v11, s41
	v_add_co_u32_e32 v9, vcc, s40, v9
	v_addc_co_u32_e32 v10, vcc, v10, v11, vcc
	s_cmp_eq_u32 s83, s33
	v_add_u32_e32 v25, s22, v25
	s_cbranch_scc1 .LBB59_10
.LBB59_14:                              ;   Parent Loop BB59_3 Depth=1
                                        ;     Parent Loop BB59_8 Depth=2
                                        ;       Parent Loop BB59_11 Depth=3
                                        ; =>      This Loop Header: Depth=4
                                        ;           Child Loop BB59_17 Depth 5
	s_andn2_b64 vcc, exec, s[46:47]
	s_cbranch_vccnz .LBB59_13
; %bb.15:                               ;   in Loop: Header=BB59_14 Depth=4
	v_mad_u64_u32 v[11:12], s[0:1], s56, v25, v[7:8]
	s_mul_i32 s62, s83, s22
	s_mov_b32 s84, s13
	v_mad_u64_u32 v[12:13], s[0:1], s57, v25, v[12:13]
	v_add_u32_e32 v13, s62, v23
	v_cmp_gt_i32_e32 vcc, 0, v13
	v_cmp_le_i32_e64 s[0:1], s10, v13
	s_or_b64 s[0:1], vcc, s[0:1]
	v_mov_b32_e32 v14, v10
	s_nor_b64 s[0:1], s[60:61], s[0:1]
	v_mov_b32_e32 v13, v9
	s_branch .LBB59_17
.LBB59_16:                              ;   in Loop: Header=BB59_17 Depth=5
	s_or_b64 exec, exec, s[62:63]
	v_mov_b32_e32 v26, s43
	v_add_co_u32_e32 v13, vcc, s42, v13
	v_addc_co_u32_e32 v14, vcc, v14, v26, vcc
	s_add_i32 s84, s84, -1
	v_mov_b32_e32 v26, s53
	v_add_co_u32_e32 v11, vcc, s52, v11
	s_cmp_eq_u32 s84, 0
	v_addc_co_u32_e32 v12, vcc, v12, v26, vcc
	s_cbranch_scc1 .LBB59_13
.LBB59_17:                              ;   Parent Loop BB59_3 Depth=1
                                        ;     Parent Loop BB59_8 Depth=2
                                        ;       Parent Loop BB59_11 Depth=3
                                        ;         Parent Loop BB59_14 Depth=4
                                        ; =>        This Inner Loop Header: Depth=5
	s_and_saveexec_b64 s[62:63], s[0:1]
	s_cbranch_execz .LBB59_16
; %bb.18:                               ;   in Loop: Header=BB59_17 Depth=5
	global_load_dword v26, v[11:12], off
	global_load_dword v28, v[13:14], off
	s_waitcnt vmcnt(1)
	v_cvt_f64_f32_e32 v[26:27], v26
	s_waitcnt vmcnt(0)
	v_cvt_f64_f32_e32 v[28:29], v28
	v_fma_f64 v[1:2], v[26:27], v[28:29], v[1:2]
	s_branch .LBB59_16
.LBB59_19:                              ;   in Loop: Header=BB59_3 Depth=1
	v_ashrrev_i32_e32 v3, 31, v21
	v_mul_lo_u32 v9, s51, v21
	v_mul_lo_u32 v10, s50, v3
	v_mad_u64_u32 v[3:4], s[0:1], s50, v21, 0
	v_ashrrev_i32_e32 v5, 31, v20
	v_mul_lo_u32 v11, s49, v20
	v_mul_lo_u32 v12, s48, v5
	v_mad_u64_u32 v[5:6], s[0:1], s48, v20, 0
	v_add3_u32 v4, v4, v10, v9
	v_lshlrev_b64 v[3:4], 2, v[3:4]
	v_mul_lo_u32 v13, v19, s44
	v_mul_lo_u32 v14, v18, s45
	v_mad_u64_u32 v[7:8], s[0:1], v18, s44, 0
	v_add3_u32 v6, v6, v12, v11
	v_mov_b32_e32 v9, s75
	v_add_co_u32_e32 v10, vcc, s74, v3
	v_addc_co_u32_e32 v9, vcc, v9, v4, vcc
	v_lshlrev_b64 v[3:4], 2, v[5:6]
	v_add3_u32 v8, v8, v14, v13
	v_add_co_u32_e32 v5, vcc, v10, v3
	v_addc_co_u32_e32 v6, vcc, v9, v4, vcc
	v_lshlrev_b64 v[3:4], 2, v[7:8]
	s_andn2_b64 vcc, exec, s[72:73]
	v_add_co_u32_e64 v3, s[0:1], v5, v3
	v_addc_co_u32_e64 v4, s[0:1], v6, v4, s[0:1]
	s_cbranch_vccnz .LBB59_2
; %bb.20:                               ;   in Loop: Header=BB59_3 Depth=1
	global_load_dword v5, v[3:4], off
	s_waitcnt vmcnt(0)
	v_cvt_f64_f32_e32 v[5:6], v5
	v_mul_f64 v[5:6], s[30:31], v[5:6]
	v_fma_f64 v[1:2], s[28:29], v[1:2], v[5:6]
	s_branch .LBB59_2
.LBB59_21:
	s_endpgm
	.section	.rodata,"a",@progbits
	.p2align	6, 0x0
	.amdhsa_kernel naive_conv_ab_nonpacked_fwd_ndhwc_float_double_float
		.amdhsa_group_segment_fixed_size 0
		.amdhsa_private_segment_fixed_size 0
		.amdhsa_kernarg_size 528
		.amdhsa_user_sgpr_count 6
		.amdhsa_user_sgpr_private_segment_buffer 1
		.amdhsa_user_sgpr_dispatch_ptr 0
		.amdhsa_user_sgpr_queue_ptr 0
		.amdhsa_user_sgpr_kernarg_segment_ptr 1
		.amdhsa_user_sgpr_dispatch_id 0
		.amdhsa_user_sgpr_flat_scratch_init 0
		.amdhsa_user_sgpr_private_segment_size 0
		.amdhsa_uses_dynamic_stack 0
		.amdhsa_system_sgpr_private_segment_wavefront_offset 0
		.amdhsa_system_sgpr_workgroup_id_x 1
		.amdhsa_system_sgpr_workgroup_id_y 0
		.amdhsa_system_sgpr_workgroup_id_z 0
		.amdhsa_system_sgpr_workgroup_info 0
		.amdhsa_system_vgpr_workitem_id 0
		.amdhsa_next_free_vgpr 30
		.amdhsa_next_free_sgpr 88
		.amdhsa_reserve_vcc 1
		.amdhsa_reserve_flat_scratch 0
		.amdhsa_float_round_mode_32 0
		.amdhsa_float_round_mode_16_64 0
		.amdhsa_float_denorm_mode_32 3
		.amdhsa_float_denorm_mode_16_64 3
		.amdhsa_dx10_clamp 1
		.amdhsa_ieee_mode 1
		.amdhsa_fp16_overflow 0
		.amdhsa_exception_fp_ieee_invalid_op 0
		.amdhsa_exception_fp_denorm_src 0
		.amdhsa_exception_fp_ieee_div_zero 0
		.amdhsa_exception_fp_ieee_overflow 0
		.amdhsa_exception_fp_ieee_underflow 0
		.amdhsa_exception_fp_ieee_inexact 0
		.amdhsa_exception_int_div_zero 0
	.end_amdhsa_kernel
	.text
.Lfunc_end59:
	.size	naive_conv_ab_nonpacked_fwd_ndhwc_float_double_float, .Lfunc_end59-naive_conv_ab_nonpacked_fwd_ndhwc_float_double_float
                                        ; -- End function
	.set naive_conv_ab_nonpacked_fwd_ndhwc_float_double_float.num_vgpr, 30
	.set naive_conv_ab_nonpacked_fwd_ndhwc_float_double_float.num_agpr, 0
	.set naive_conv_ab_nonpacked_fwd_ndhwc_float_double_float.numbered_sgpr, 88
	.set naive_conv_ab_nonpacked_fwd_ndhwc_float_double_float.num_named_barrier, 0
	.set naive_conv_ab_nonpacked_fwd_ndhwc_float_double_float.private_seg_size, 0
	.set naive_conv_ab_nonpacked_fwd_ndhwc_float_double_float.uses_vcc, 1
	.set naive_conv_ab_nonpacked_fwd_ndhwc_float_double_float.uses_flat_scratch, 0
	.set naive_conv_ab_nonpacked_fwd_ndhwc_float_double_float.has_dyn_sized_stack, 0
	.set naive_conv_ab_nonpacked_fwd_ndhwc_float_double_float.has_recursion, 0
	.set naive_conv_ab_nonpacked_fwd_ndhwc_float_double_float.has_indirect_call, 0
	.section	.AMDGPU.csdata,"",@progbits
; Kernel info:
; codeLenInByte = 1940
; TotalNumSgprs: 92
; NumVgprs: 30
; ScratchSize: 0
; MemoryBound: 0
; FloatMode: 240
; IeeeMode: 1
; LDSByteSize: 0 bytes/workgroup (compile time only)
; SGPRBlocks: 11
; VGPRBlocks: 7
; NumSGPRsForWavesPerEU: 92
; NumVGPRsForWavesPerEU: 30
; Occupancy: 8
; WaveLimiterHint : 1
; COMPUTE_PGM_RSRC2:SCRATCH_EN: 0
; COMPUTE_PGM_RSRC2:USER_SGPR: 6
; COMPUTE_PGM_RSRC2:TRAP_HANDLER: 0
; COMPUTE_PGM_RSRC2:TGID_X_EN: 1
; COMPUTE_PGM_RSRC2:TGID_Y_EN: 0
; COMPUTE_PGM_RSRC2:TGID_Z_EN: 0
; COMPUTE_PGM_RSRC2:TIDIG_COMP_CNT: 0
	.text
	.protected	naive_conv_ab_packed_fwd_ndhwc_half_double_half ; -- Begin function naive_conv_ab_packed_fwd_ndhwc_half_double_half
	.globl	naive_conv_ab_packed_fwd_ndhwc_half_double_half
	.p2align	8
	.type	naive_conv_ab_packed_fwd_ndhwc_half_double_half,@function
naive_conv_ab_packed_fwd_ndhwc_half_double_half: ; @naive_conv_ab_packed_fwd_ndhwc_half_double_half
; %bb.0:
	s_load_dwordx16 s[8:23], s[4:5], 0xb8
	s_abs_i32 s1, s6
	s_waitcnt lgkmcnt(0)
	s_abs_i32 s0, s14
	v_cvt_f32_u32_e32 v1, s0
	s_sub_i32 s3, 0, s0
	s_mul_i32 s2, s14, s11
	v_rcp_iflag_f32_e32 v1, v1
	v_mul_f32_e32 v1, 0x4f7ffffe, v1
	v_cvt_u32_f32_e32 v1, v1
	v_readfirstlane_b32 s7, v1
	s_mul_i32 s3, s3, s7
	s_mul_hi_u32 s3, s7, s3
	s_add_i32 s7, s7, s3
	s_mul_hi_u32 s3, s1, s7
	s_mul_i32 s7, s3, s0
	s_sub_i32 s7, s1, s7
	s_add_i32 s24, s3, 1
	s_sub_i32 s25, s7, s0
	s_cmp_ge_u32 s7, s0
	s_cselect_b32 s3, s24, s3
	s_cselect_b32 s7, s25, s7
	s_add_i32 s24, s3, 1
	s_cmp_ge_u32 s7, s0
	s_cselect_b32 s3, s24, s3
	s_abs_i32 s40, s11
	s_abs_i32 s7, s2
	v_cvt_f32_u32_e32 v1, s40
	v_cvt_f32_u32_e32 v2, s7
	s_mul_i32 s0, s16, s12
	s_mul_i32 s11, s0, s15
	v_rcp_iflag_f32_e32 v1, v1
	v_rcp_iflag_f32_e32 v2, v2
	v_cmp_gt_i32_e32 vcc, s11, v0
	v_mul_f32_e32 v1, 0x4f7ffffe, v1
	v_mul_f32_e32 v2, 0x4f7ffffe, v2
	v_cvt_u32_f32_e32 v1, v1
	v_cvt_u32_f32_e32 v2, v2
	v_readfirstlane_b32 s34, v1
	v_readfirstlane_b32 s33, v2
	s_and_saveexec_b64 s[24:25], vcc
	s_cbranch_execz .LBB60_23
; %bb.1:
	s_ashr_i32 s41, s6, 31
	s_ashr_i32 s35, s14, 31
	s_xor_b32 s35, s41, s35
	s_xor_b32 s3, s3, s35
	s_sub_i32 s42, s3, s35
	s_sub_i32 s3, 0, s40
	s_mul_i32 s3, s3, s34
	s_mul_hi_u32 s3, s34, s3
	s_abs_i32 s44, s42
	s_add_i32 s34, s34, s3
	s_ashr_i32 s46, s2, 31
	s_sub_i32 s2, 0, s7
	s_mul_hi_u32 s45, s44, s34
	s_mul_i32 s2, s2, s33
	s_mul_hi_u32 s2, s33, s2
	s_mul_i32 s45, s45, s40
	s_load_dwordx8 s[24:31], s[4:5], 0x0
	s_ashr_i32 s43, s42, 31
	s_add_i32 s33, s33, s2
	s_load_dwordx2 s[34:35], s[4:5], 0x108
	s_load_dwordx2 s[2:3], s[4:5], 0x20
	s_load_dwordx4 s[36:39], s[4:5], 0xf8
	s_load_dword s48, s[4:5], 0x11c
	s_mul_i32 s42, s42, s14
	s_sub_i32 s4, s44, s45
	s_sub_i32 s42, s6, s42
	;; [unrolled: 1-line block ×3, first 2 shown]
	s_cmp_ge_u32 s4, s40
	s_cselect_b32 s4, s5, s4
	s_sub_i32 s5, s4, s40
	s_mul_hi_u32 s47, s1, s33
	s_cmp_ge_u32 s4, s40
	s_cselect_b32 s4, s5, s4
	s_mul_i32 s5, s47, s7
	s_xor_b32 s4, s4, s43
	s_sub_i32 s1, s1, s5
	s_sub_i32 s49, s4, s43
	s_xor_b32 s4, s41, s46
	s_add_i32 s5, s47, 1
	s_sub_i32 s6, s1, s7
	s_cmp_ge_u32 s1, s7
	s_cselect_b32 s5, s5, s47
	s_cselect_b32 s1, s6, s1
	s_add_i32 s6, s5, 1
	s_cmp_ge_u32 s1, s7
	s_cselect_b32 s1, s6, s5
	s_waitcnt lgkmcnt(0)
	s_mul_i32 s33, s35, s12
	s_mul_i32 s35, s35, s13
	s_xor_b32 s1, s1, s4
	s_sub_i32 s50, s1, s4
	s_ashr_i32 s51, s49, 31
	s_ashr_i32 s52, s8, 31
	;; [unrolled: 1-line block ×7, first 2 shown]
	s_mul_hi_i32 s6, s49, s14
	s_mul_i32 s7, s49, s14
	s_ashr_i32 s63, s33, 31
	s_ashr_i32 s14, s42, 31
	s_add_u32 s40, s7, s42
	s_addc_u32 s6, s6, s14
	s_mul_i32 s14, s16, s15
	s_mul_hi_i32 s7, s16, s15
	s_mul_hi_u32 s15, s14, s33
	s_mul_i32 s41, s14, s63
	s_add_i32 s15, s15, s41
	s_mul_i32 s7, s7, s33
	s_mul_i32 s14, s14, s33
	s_add_i32 s7, s15, s7
	s_mul_i32 s6, s14, s6
	s_mul_hi_u32 s15, s14, s40
	s_add_i32 s6, s15, s6
	s_mul_i32 s7, s7, s40
	s_add_i32 s7, s6, s7
	s_mul_i32 s6, s14, s40
	s_lshl_b64 s[6:7], s[6:7], 1
	s_mul_hi_i32 s5, s50, s12
	s_mul_i32 s4, s50, s12
	s_add_u32 s2, s2, s6
	s_addc_u32 s3, s3, s7
	s_lshl_b64 s[6:7], s[4:5], 1
	s_add_u32 s64, s2, s6
	s_addc_u32 s65, s3, s7
	s_cmp_lt_i32 s38, 1
	s_mul_i32 s42, s42, s17
	s_cselect_b64 s[14:15], -1, 0
	s_sub_i32 s17, s42, s23
	s_cmp_gt_i32 s39, 0
	s_cselect_b64 s[40:41], -1, 0
	s_cmp_gt_i32 s34, 0
	s_cselect_b64 s[42:43], -1, 0
	;; [unrolled: 2-line block ×3, first 2 shown]
	s_abs_i32 s67, s0
	s_abs_i32 s69, s12
	;; [unrolled: 1-line block ×3, first 2 shown]
	v_cvt_f32_u32_e32 v1, s69
	v_cvt_f32_u32_e32 v2, s70
	;; [unrolled: 1-line block ×3, first 2 shown]
	v_cmp_neq_f64_e64 s[2:3], s[28:29], 1.0
	v_cmp_neq_f64_e64 s[4:5], s[30:31], 0
	v_rcp_iflag_f32_e32 v1, v1
	v_rcp_iflag_f32_e32 v2, v2
	;; [unrolled: 1-line block ×3, first 2 shown]
	s_and_b32 s23, s48, 0xffff
	v_mul_f32_e32 v1, 0x4f7ffffe, v1
	v_mul_f32_e32 v2, 0x4f7ffffe, v2
	v_mul_f32_e32 v3, 0x4f7ffffe, v3
	v_cvt_u32_f32_e32 v1, v1
	v_cvt_u32_f32_e32 v2, v2
	;; [unrolled: 1-line block ×3, first 2 shown]
	s_or_b64 s[46:47], s[2:3], s[4:5]
	s_mul_hi_i32 s3, s13, s50
	s_mul_i32 s2, s13, s50
	s_ashr_i32 s66, s0, 31
	s_lshl_b64 s[2:3], s[2:3], 1
	s_ashr_i32 s68, s12, 31
	s_sub_i32 s0, 0, s69
	s_sub_i32 s4, 0, s70
	;; [unrolled: 1-line block ×3, first 2 shown]
	s_add_u32 s24, s24, s2
	s_mul_i32 s2, s10, s9
	s_addc_u32 s25, s25, s3
	s_mul_i32 s3, s2, s52
	s_mul_hi_u32 s48, s2, s8
	v_mul_lo_u32 v4, s0, v1
	v_mul_lo_u32 v5, s4, v2
	;; [unrolled: 1-line block ×3, first 2 shown]
	s_mul_i32 s0, s34, s39
	s_add_i32 s3, s48, s3
	s_mul_hi_i32 s48, s10, s9
	s_mul_i32 s4, s0, s1
	s_mul_hi_u32 s5, s0, s13
	s_mul_i32 s48, s48, s8
	s_mul_i32 s2, s2, s8
	s_add_i32 s4, s5, s4
	s_mul_hi_i32 s5, s34, s39
	s_add_i32 s3, s3, s48
	s_mul_i32 s48, s2, s51
	s_mul_hi_u32 s50, s2, s49
	s_mul_i32 s5, s5, s13
	s_add_i32 s48, s50, s48
	s_mul_i32 s3, s3, s49
	s_add_i32 s5, s4, s5
	s_mul_i32 s4, s0, s13
	v_mul_hi_u32 v4, v1, v4
	v_mul_hi_u32 v5, v2, v5
	;; [unrolled: 1-line block ×3, first 2 shown]
	s_add_i32 s3, s48, s3
	s_mul_i32 s0, s4, s53
	s_mul_hi_u32 s48, s4, s38
	s_mul_i32 s2, s2, s49
	s_add_i32 s0, s48, s0
	s_mul_i32 s48, s5, s38
	s_add_i32 s71, s0, s48
	s_mov_b32 s0, s13
	s_lshl_b64 s[48:49], s[2:3], 1
	s_mul_hi_i32 s3, s34, s13
	s_mul_i32 s2, s34, s13
	v_add_u32_e32 v18, v1, v4
	v_add_u32_e32 v19, v2, v5
	;; [unrolled: 1-line block ×3, first 2 shown]
	s_mul_i32 s72, s4, s38
	s_lshl_b64 s[50:51], s[4:5], 1
	s_lshl_b64 s[52:53], s[2:3], 1
	;; [unrolled: 1-line block ×3, first 2 shown]
	v_mov_b32_e32 v21, 0x7c00
	v_mov_b32_e32 v22, 0x7e00
	s_movk_i32 s73, 0x1ff
	s_movk_i32 s74, 0xffe
	;; [unrolled: 1-line block ×3, first 2 shown]
	s_mov_b32 s76, 0x8000
	s_mov_b64 s[56:57], 0
	s_branch .LBB60_3
.LBB60_2:                               ;   in Loop: Header=BB60_3 Depth=1
	v_add_u32_e32 v0, s23, v0
	v_cmp_le_i32_e32 vcc, s11, v0
	s_or_b64 s[56:57], vcc, s[56:57]
	s_andn2_b64 exec, exec, s[56:57]
	s_cbranch_execz .LBB60_23
.LBB60_3:                               ; =>This Loop Header: Depth=1
                                        ;     Child Loop BB60_8 Depth 2
                                        ;       Child Loop BB60_11 Depth 3
                                        ;         Child Loop BB60_14 Depth 4
                                        ;           Child Loop BB60_17 Depth 5
	v_sub_u32_e32 v1, 0, v0
	v_max_i32_e32 v4, v0, v1
	v_mul_hi_u32 v2, v4, v18
	v_ashrrev_i32_e32 v1, 31, v0
	v_xor_b32_e32 v5, s68, v1
	s_mov_b64 s[58:59], -1
	v_mul_lo_u32 v3, v2, s69
	v_add_u32_e32 v6, 1, v2
	v_sub_u32_e32 v3, v4, v3
	v_cmp_le_u32_e32 vcc, s69, v3
	v_cndmask_b32_e32 v2, v2, v6, vcc
	v_subrev_u32_e32 v6, s69, v3
	v_cndmask_b32_e32 v3, v3, v6, vcc
	v_add_u32_e32 v6, 1, v2
	v_cmp_le_u32_e32 vcc, s69, v3
	v_cndmask_b32_e32 v2, v2, v6, vcc
	v_xor_b32_e32 v2, v2, v5
	v_sub_u32_e32 v2, v2, v5
	v_sub_u32_e32 v3, 0, v2
	v_max_i32_e32 v5, v2, v3
	v_mul_hi_u32 v3, v5, v19
	v_mul_hi_u32 v6, v4, v20
	v_mul_lo_u32 v7, v2, s12
	v_mul_lo_u32 v8, v3, s70
	;; [unrolled: 1-line block ×3, first 2 shown]
	v_sub_u32_e32 v3, v0, v7
	v_sub_u32_e32 v5, v5, v8
	v_subrev_u32_e32 v7, s70, v5
	v_cmp_le_u32_e32 vcc, s70, v5
	v_sub_u32_e32 v4, v4, v9
	v_cndmask_b32_e32 v5, v5, v7, vcc
	v_subrev_u32_e32 v7, s67, v4
	v_cmp_le_u32_e64 s[0:1], s67, v4
	v_cndmask_b32_e64 v4, v4, v7, s[0:1]
	v_cmp_le_u32_e64 s[4:5], s70, v5
	v_cmp_le_u32_e64 s[2:3], s67, v4
	s_andn2_b64 vcc, exec, s[14:15]
	s_cbranch_vccnz .LBB60_5
; %bb.4:                                ;   in Loop: Header=BB60_3 Depth=1
	v_ashrrev_i32_e32 v4, 31, v3
	s_mov_b64 s[58:59], 0
.LBB60_5:                               ;   in Loop: Header=BB60_3 Depth=1
	v_subrev_u32_e32 v7, s70, v5
	v_ashrrev_i32_e32 v2, 31, v2
	v_cndmask_b32_e64 v5, v5, v7, s[4:5]
	v_xor_b32_e32 v7, s66, v1
	v_add_u32_e32 v1, 1, v6
	v_xor_b32_e32 v5, v5, v2
	v_cndmask_b32_e64 v1, v6, v1, s[0:1]
	v_sub_u32_e32 v5, v5, v2
	v_add_u32_e32 v2, 1, v1
	v_cndmask_b32_e64 v1, v1, v2, s[2:3]
	v_xor_b32_e32 v6, v1, v7
	v_mov_b32_e32 v1, 0
	v_mov_b32_e32 v2, 0
	s_andn2_b64 vcc, exec, s[58:59]
	v_sub_u32_e32 v23, v6, v7
	s_cbranch_vccnz .LBB60_19
; %bb.6:                                ;   in Loop: Header=BB60_3 Depth=1
	v_ashrrev_i32_e32 v4, 31, v3
	v_lshlrev_b64 v[1:2], 1, v[3:4]
	v_mov_b32_e32 v6, s7
	v_add_co_u32_e32 v7, vcc, s6, v1
	v_addc_co_u32_e32 v1, vcc, v6, v2, vcc
	v_mul_lo_u32 v10, s72, v1
	v_mov_b32_e32 v1, s26
	v_mov_b32_e32 v2, s27
	v_mul_lo_u32 v8, v23, s18
	v_mul_lo_u32 v9, v5, s19
	;; [unrolled: 1-line block ×3, first 2 shown]
	v_mad_u64_u32 v[6:7], s[0:1], s72, v7, v[1:2]
	v_mov_b32_e32 v1, 0
	v_subrev_u32_e32 v24, s36, v8
	v_subrev_u32_e32 v25, s37, v9
	v_add3_u32 v7, v11, v7, v10
	s_mov_b32 s77, 0
	v_mov_b32_e32 v2, 0
	s_mov_b32 s78, s17
	s_branch .LBB60_8
.LBB60_7:                               ;   in Loop: Header=BB60_8 Depth=2
	s_add_i32 s77, s77, 1
	s_add_i32 s78, s78, s20
	v_mov_b32_e32 v8, s51
	v_add_co_u32_e32 v6, vcc, s50, v6
	s_cmp_eq_u32 s77, s38
	v_addc_co_u32_e32 v7, vcc, v7, v8, vcc
	s_cbranch_scc1 .LBB60_19
.LBB60_8:                               ;   Parent Loop BB60_3 Depth=1
                                        ; =>  This Loop Header: Depth=2
                                        ;       Child Loop BB60_11 Depth 3
                                        ;         Child Loop BB60_14 Depth 4
                                        ;           Child Loop BB60_17 Depth 5
	s_andn2_b64 vcc, exec, s[40:41]
	s_cbranch_vccnz .LBB60_7
; %bb.9:                                ;   in Loop: Header=BB60_8 Depth=2
	s_mul_i32 s0, s60, s78
	s_mul_hi_u32 s1, s9, s78
	s_add_i32 s79, s1, s0
	s_mul_i32 s0, s77, s20
	s_add_i32 s2, s0, s17
	s_cmp_lt_i32 s2, 0
	s_cselect_b64 s[0:1], -1, 0
	s_cmp_ge_i32 s2, s8
	s_cselect_b64 s[2:3], -1, 0
	v_mov_b32_e32 v9, v7
	s_mul_i32 s80, s9, s78
	s_mov_b32 s81, 0
	s_or_b64 s[2:3], s[0:1], s[2:3]
	v_mov_b32_e32 v8, v6
	v_mov_b32_e32 v26, v24
	s_branch .LBB60_11
.LBB60_10:                              ;   in Loop: Header=BB60_11 Depth=3
	s_add_i32 s81, s81, 1
	v_mov_b32_e32 v10, s53
	v_add_co_u32_e32 v8, vcc, s52, v8
	v_add_u32_e32 v26, s21, v26
	s_cmp_eq_u32 s81, s39
	v_addc_co_u32_e32 v9, vcc, v9, v10, vcc
	s_cbranch_scc1 .LBB60_7
.LBB60_11:                              ;   Parent Loop BB60_3 Depth=1
                                        ;     Parent Loop BB60_8 Depth=2
                                        ; =>    This Loop Header: Depth=3
                                        ;         Child Loop BB60_14 Depth 4
                                        ;           Child Loop BB60_17 Depth 5
	s_andn2_b64 vcc, exec, s[42:43]
	s_cbranch_vccnz .LBB60_10
; %bb.12:                               ;   in Loop: Header=BB60_11 Depth=3
	v_mov_b32_e32 v10, s79
	v_add_co_u32_e32 v11, vcc, s80, v26
	v_addc_co_u32_e32 v10, vcc, 0, v10, vcc
	v_mul_lo_u32 v12, s61, v11
	v_mul_lo_u32 v13, s10, v10
	v_mad_u64_u32 v[10:11], s[0:1], s10, v11, 0
	s_mul_i32 s0, s81, s21
	s_mov_b32 s82, 0
	v_add3_u32 v11, v11, v13, v12
	v_add_u32_e32 v12, s0, v24
	v_cmp_gt_i32_e32 vcc, 0, v12
	v_cmp_le_i32_e64 s[0:1], s9, v12
	s_or_b64 s[0:1], vcc, s[0:1]
	v_mov_b32_e32 v13, v9
	s_or_b64 s[4:5], s[2:3], s[0:1]
	v_mov_b32_e32 v12, v8
	v_mov_b32_e32 v27, v25
	s_branch .LBB60_14
.LBB60_13:                              ;   in Loop: Header=BB60_14 Depth=4
	s_add_i32 s82, s82, 1
	v_mov_b32_e32 v14, s55
	v_add_co_u32_e32 v12, vcc, s54, v12
	v_add_u32_e32 v27, s22, v27
	s_cmp_eq_u32 s82, s34
	v_addc_co_u32_e32 v13, vcc, v13, v14, vcc
	s_cbranch_scc1 .LBB60_10
.LBB60_14:                              ;   Parent Loop BB60_3 Depth=1
                                        ;     Parent Loop BB60_8 Depth=2
                                        ;       Parent Loop BB60_11 Depth=3
                                        ; =>      This Loop Header: Depth=4
                                        ;           Child Loop BB60_17 Depth 5
	s_andn2_b64 vcc, exec, s[44:45]
	s_cbranch_vccnz .LBB60_13
; %bb.15:                               ;   in Loop: Header=BB60_14 Depth=4
	v_add_co_u32_e32 v14, vcc, v10, v27
	v_addc_co_u32_e32 v15, vcc, 0, v11, vcc
	v_lshlrev_b64 v[14:15], 1, v[14:15]
	v_mov_b32_e32 v16, s49
	v_add_co_u32_e32 v17, vcc, s48, v14
	v_addc_co_u32_e32 v14, vcc, v16, v15, vcc
	v_mul_lo_u32 v16, s35, v14
	v_mov_b32_e32 v14, s24
	v_mov_b32_e32 v15, s25
	v_mul_lo_u32 v28, s62, v17
	v_mad_u64_u32 v[14:15], s[0:1], s35, v17, v[14:15]
	s_mul_i32 s0, s82, s22
	s_mov_b32 s83, s13
	v_add3_u32 v15, v28, v15, v16
	v_add_u32_e32 v16, s0, v25
	v_cmp_gt_i32_e32 vcc, 0, v16
	v_cmp_le_i32_e64 s[0:1], s10, v16
	s_or_b64 s[0:1], vcc, s[0:1]
	v_mov_b32_e32 v17, v13
	s_nor_b64 s[0:1], s[4:5], s[0:1]
	v_mov_b32_e32 v16, v12
	s_branch .LBB60_17
.LBB60_16:                              ;   in Loop: Header=BB60_17 Depth=5
	s_or_b64 exec, exec, s[58:59]
	v_add_co_u32_e32 v14, vcc, 2, v14
	v_addc_co_u32_e32 v15, vcc, 0, v15, vcc
	s_add_i32 s83, s83, -1
	v_add_co_u32_e32 v16, vcc, 2, v16
	s_cmp_eq_u32 s83, 0
	v_addc_co_u32_e32 v17, vcc, 0, v17, vcc
	s_cbranch_scc1 .LBB60_13
.LBB60_17:                              ;   Parent Loop BB60_3 Depth=1
                                        ;     Parent Loop BB60_8 Depth=2
                                        ;       Parent Loop BB60_11 Depth=3
                                        ;         Parent Loop BB60_14 Depth=4
                                        ; =>        This Inner Loop Header: Depth=5
	s_and_saveexec_b64 s[58:59], s[0:1]
	s_cbranch_execz .LBB60_16
; %bb.18:                               ;   in Loop: Header=BB60_17 Depth=5
	global_load_ushort v28, v[14:15], off
	global_load_ushort v29, v[16:17], off
	s_waitcnt vmcnt(1)
	v_cvt_f32_f16_e32 v28, v28
	s_waitcnt vmcnt(0)
	v_cvt_f32_f16_e32 v30, v29
	v_cvt_f64_f32_e32 v[28:29], v28
	v_cvt_f64_f32_e32 v[30:31], v30
	v_fma_f64 v[1:2], v[28:29], v[30:31], v[1:2]
	s_branch .LBB60_16
.LBB60_19:                              ;   in Loop: Header=BB60_3 Depth=1
	v_ashrrev_i32_e32 v6, 31, v5
	v_mad_i64_i32 v[5:6], s[0:1], v23, s16, v[5:6]
	s_and_b64 vcc, exec, s[46:47]
	v_mul_lo_u32 v7, v5, s63
	v_mul_lo_u32 v6, v6, s33
	v_mad_u64_u32 v[3:4], s[0:1], v5, s33, v[3:4]
	s_mov_b64 s[0:1], -1
	v_add3_u32 v4, v6, v4, v7
	s_cbranch_vccz .LBB60_21
; %bb.20:                               ;   in Loop: Header=BB60_3 Depth=1
	v_lshlrev_b64 v[5:6], 1, v[3:4]
	v_mov_b32_e32 v7, s65
	v_add_co_u32_e32 v5, vcc, s64, v5
	v_addc_co_u32_e32 v6, vcc, v7, v6, vcc
	global_load_ushort v7, v[5:6], off
	s_mov_b64 s[0:1], 0
	s_waitcnt vmcnt(0)
	v_cvt_f32_f16_e32 v7, v7
	v_cvt_f64_f32_e32 v[7:8], v7
	v_mul_f64 v[7:8], s[30:31], v[7:8]
	v_fma_f64 v[7:8], s[28:29], v[1:2], v[7:8]
	v_and_or_b32 v7, v8, s73, v7
	v_cmp_ne_u32_e32 vcc, 0, v7
	v_lshrrev_b32_e32 v9, 8, v8
	v_bfe_u32 v10, v8, 20, 11
	v_cndmask_b32_e64 v7, 0, 1, vcc
	v_sub_u32_e32 v11, 0x3f1, v10
	v_and_or_b32 v7, v9, s74, v7
	v_med3_i32 v9, v11, 0, 13
	v_or_b32_e32 v11, 0x1000, v7
	v_lshrrev_b32_e32 v13, v9, v11
	v_add_u32_e32 v10, 0xfffffc10, v10
	v_cmp_ne_u32_e32 vcc, 0, v7
	v_lshlrev_b32_e32 v9, v9, v13
	v_lshl_or_b32 v12, v10, 12, v7
	v_cndmask_b32_e32 v7, v21, v22, vcc
	v_cmp_ne_u32_e32 vcc, v9, v11
	v_cndmask_b32_e64 v9, 0, 1, vcc
	v_or_b32_e32 v9, v13, v9
	v_cmp_gt_i32_e32 vcc, 1, v10
	v_cndmask_b32_e32 v9, v12, v9, vcc
	v_and_b32_e32 v11, 7, v9
	v_cmp_lt_i32_e32 vcc, 5, v11
	v_cndmask_b32_e64 v12, 0, 1, vcc
	v_cmp_eq_u32_e32 vcc, 3, v11
	v_cndmask_b32_e64 v11, 0, 1, vcc
	v_lshrrev_b32_e32 v9, 2, v9
	v_or_b32_e32 v11, v11, v12
	v_add_u32_e32 v9, v9, v11
	v_cmp_gt_i32_e32 vcc, 31, v10
	v_cndmask_b32_e32 v9, v21, v9, vcc
	v_cmp_eq_u32_e32 vcc, s75, v10
	v_lshrrev_b32_e32 v8, 16, v8
	v_cndmask_b32_e32 v7, v9, v7, vcc
	v_and_or_b32 v7, v8, s76, v7
	global_store_short v[5:6], v7, off
.LBB60_21:                              ;   in Loop: Header=BB60_3 Depth=1
	s_andn2_b64 vcc, exec, s[0:1]
	s_cbranch_vccnz .LBB60_2
; %bb.22:                               ;   in Loop: Header=BB60_3 Depth=1
	v_and_or_b32 v1, v2, s73, v1
	v_cmp_ne_u32_e32 vcc, 0, v1
	v_cndmask_b32_e64 v1, 0, 1, vcc
	v_lshrrev_b32_e32 v5, 8, v2
	v_bfe_u32 v6, v2, 20, 11
	v_and_or_b32 v1, v5, s74, v1
	v_sub_u32_e32 v7, 0x3f1, v6
	v_or_b32_e32 v5, 0x1000, v1
	v_med3_i32 v7, v7, 0, 13
	v_lshrrev_b32_e32 v8, v7, v5
	v_lshlrev_b32_e32 v7, v7, v8
	v_cmp_ne_u32_e32 vcc, v7, v5
	v_cndmask_b32_e64 v5, 0, 1, vcc
	v_add_u32_e32 v6, 0xfffffc10, v6
	v_or_b32_e32 v5, v8, v5
	v_lshl_or_b32 v7, v6, 12, v1
	v_cmp_gt_i32_e32 vcc, 1, v6
	v_cndmask_b32_e32 v5, v7, v5, vcc
	v_and_b32_e32 v7, 7, v5
	v_cmp_lt_i32_e32 vcc, 5, v7
	v_cndmask_b32_e64 v8, 0, 1, vcc
	v_cmp_eq_u32_e32 vcc, 3, v7
	v_cndmask_b32_e64 v7, 0, 1, vcc
	v_or_b32_e32 v7, v7, v8
	v_lshrrev_b32_e32 v5, 2, v5
	v_add_u32_e32 v5, v5, v7
	v_cmp_gt_i32_e32 vcc, 31, v6
	v_cndmask_b32_e32 v5, v21, v5, vcc
	v_cmp_ne_u32_e32 vcc, 0, v1
	v_cndmask_b32_e32 v1, v21, v22, vcc
	v_cmp_eq_u32_e32 vcc, s75, v6
	v_cndmask_b32_e32 v1, v5, v1, vcc
	v_lshrrev_b32_e32 v2, 16, v2
	v_and_or_b32 v5, v2, s76, v1
	v_lshlrev_b64 v[1:2], 1, v[3:4]
	v_mov_b32_e32 v3, s65
	v_add_co_u32_e32 v1, vcc, s64, v1
	v_addc_co_u32_e32 v2, vcc, v3, v2, vcc
	global_store_short v[1:2], v5, off
	s_branch .LBB60_2
.LBB60_23:
	s_endpgm
	.section	.rodata,"a",@progbits
	.p2align	6, 0x0
	.amdhsa_kernel naive_conv_ab_packed_fwd_ndhwc_half_double_half
		.amdhsa_group_segment_fixed_size 0
		.amdhsa_private_segment_fixed_size 0
		.amdhsa_kernarg_size 528
		.amdhsa_user_sgpr_count 6
		.amdhsa_user_sgpr_private_segment_buffer 1
		.amdhsa_user_sgpr_dispatch_ptr 0
		.amdhsa_user_sgpr_queue_ptr 0
		.amdhsa_user_sgpr_kernarg_segment_ptr 1
		.amdhsa_user_sgpr_dispatch_id 0
		.amdhsa_user_sgpr_flat_scratch_init 0
		.amdhsa_user_sgpr_private_segment_size 0
		.amdhsa_uses_dynamic_stack 0
		.amdhsa_system_sgpr_private_segment_wavefront_offset 0
		.amdhsa_system_sgpr_workgroup_id_x 1
		.amdhsa_system_sgpr_workgroup_id_y 0
		.amdhsa_system_sgpr_workgroup_id_z 0
		.amdhsa_system_sgpr_workgroup_info 0
		.amdhsa_system_vgpr_workitem_id 0
		.amdhsa_next_free_vgpr 32
		.amdhsa_next_free_sgpr 84
		.amdhsa_reserve_vcc 1
		.amdhsa_reserve_flat_scratch 0
		.amdhsa_float_round_mode_32 0
		.amdhsa_float_round_mode_16_64 0
		.amdhsa_float_denorm_mode_32 3
		.amdhsa_float_denorm_mode_16_64 3
		.amdhsa_dx10_clamp 1
		.amdhsa_ieee_mode 1
		.amdhsa_fp16_overflow 0
		.amdhsa_exception_fp_ieee_invalid_op 0
		.amdhsa_exception_fp_denorm_src 0
		.amdhsa_exception_fp_ieee_div_zero 0
		.amdhsa_exception_fp_ieee_overflow 0
		.amdhsa_exception_fp_ieee_underflow 0
		.amdhsa_exception_fp_ieee_inexact 0
		.amdhsa_exception_int_div_zero 0
	.end_amdhsa_kernel
	.text
.Lfunc_end60:
	.size	naive_conv_ab_packed_fwd_ndhwc_half_double_half, .Lfunc_end60-naive_conv_ab_packed_fwd_ndhwc_half_double_half
                                        ; -- End function
	.set naive_conv_ab_packed_fwd_ndhwc_half_double_half.num_vgpr, 32
	.set naive_conv_ab_packed_fwd_ndhwc_half_double_half.num_agpr, 0
	.set naive_conv_ab_packed_fwd_ndhwc_half_double_half.numbered_sgpr, 84
	.set naive_conv_ab_packed_fwd_ndhwc_half_double_half.num_named_barrier, 0
	.set naive_conv_ab_packed_fwd_ndhwc_half_double_half.private_seg_size, 0
	.set naive_conv_ab_packed_fwd_ndhwc_half_double_half.uses_vcc, 1
	.set naive_conv_ab_packed_fwd_ndhwc_half_double_half.uses_flat_scratch, 0
	.set naive_conv_ab_packed_fwd_ndhwc_half_double_half.has_dyn_sized_stack, 0
	.set naive_conv_ab_packed_fwd_ndhwc_half_double_half.has_recursion, 0
	.set naive_conv_ab_packed_fwd_ndhwc_half_double_half.has_indirect_call, 0
	.section	.AMDGPU.csdata,"",@progbits
; Kernel info:
; codeLenInByte = 2392
; TotalNumSgprs: 88
; NumVgprs: 32
; ScratchSize: 0
; MemoryBound: 0
; FloatMode: 240
; IeeeMode: 1
; LDSByteSize: 0 bytes/workgroup (compile time only)
; SGPRBlocks: 10
; VGPRBlocks: 7
; NumSGPRsForWavesPerEU: 88
; NumVGPRsForWavesPerEU: 32
; Occupancy: 8
; WaveLimiterHint : 1
; COMPUTE_PGM_RSRC2:SCRATCH_EN: 0
; COMPUTE_PGM_RSRC2:USER_SGPR: 6
; COMPUTE_PGM_RSRC2:TRAP_HANDLER: 0
; COMPUTE_PGM_RSRC2:TGID_X_EN: 1
; COMPUTE_PGM_RSRC2:TGID_Y_EN: 0
; COMPUTE_PGM_RSRC2:TGID_Z_EN: 0
; COMPUTE_PGM_RSRC2:TIDIG_COMP_CNT: 0
	.text
	.protected	naive_conv_ab_nonpacked_fwd_ndhwc_half_double_half ; -- Begin function naive_conv_ab_nonpacked_fwd_ndhwc_half_double_half
	.globl	naive_conv_ab_nonpacked_fwd_ndhwc_half_double_half
	.p2align	8
	.type	naive_conv_ab_nonpacked_fwd_ndhwc_half_double_half,@function
naive_conv_ab_nonpacked_fwd_ndhwc_half_double_half: ; @naive_conv_ab_nonpacked_fwd_ndhwc_half_double_half
; %bb.0:
	s_load_dwordx16 s[8:23], s[4:5], 0xb8
	s_abs_i32 s3, s6
	s_waitcnt lgkmcnt(0)
	s_abs_i32 s0, s14
	v_cvt_f32_u32_e32 v1, s0
	s_sub_i32 s1, 0, s0
	s_mul_i32 s25, s14, s11
	v_rcp_iflag_f32_e32 v1, v1
	v_mul_f32_e32 v1, 0x4f7ffffe, v1
	v_cvt_u32_f32_e32 v1, v1
	v_readfirstlane_b32 s2, v1
	s_mul_i32 s1, s1, s2
	s_mul_hi_u32 s1, s2, s1
	s_add_i32 s2, s2, s1
	s_mul_hi_u32 s1, s3, s2
	s_mul_i32 s2, s1, s0
	s_sub_i32 s2, s3, s2
	s_add_i32 s7, s1, 1
	s_sub_i32 s24, s2, s0
	s_cmp_ge_u32 s2, s0
	s_cselect_b32 s1, s7, s1
	s_cselect_b32 s2, s24, s2
	s_add_i32 s7, s1, 1
	s_cmp_ge_u32 s2, s0
	s_cselect_b32 s26, s7, s1
	s_abs_i32 s24, s11
	s_abs_i32 s7, s25
	v_cvt_f32_u32_e32 v1, s24
	v_cvt_f32_u32_e32 v2, s7
	s_mul_i32 s2, s16, s12
	s_mul_i32 s11, s2, s15
	v_rcp_iflag_f32_e32 v1, v1
	v_rcp_iflag_f32_e32 v2, v2
	v_cmp_gt_i32_e32 vcc, s11, v0
	v_mul_f32_e32 v1, 0x4f7ffffe, v1
	v_mul_f32_e32 v2, 0x4f7ffffe, v2
	v_cvt_u32_f32_e32 v1, v1
	v_cvt_u32_f32_e32 v2, v2
	v_readfirstlane_b32 s27, v1
	v_readfirstlane_b32 s15, v2
	s_and_saveexec_b64 s[0:1], vcc
	s_cbranch_execz .LBB61_23
; %bb.1:
	s_ashr_i32 s34, s6, 31
	s_ashr_i32 s28, s14, 31
	s_xor_b32 s28, s34, s28
	s_xor_b32 s26, s26, s28
	s_sub_i32 s26, s26, s28
	s_sub_i32 s28, 0, s24
	s_mul_i32 s28, s28, s27
	s_mul_hi_u32 s28, s27, s28
	s_abs_i32 s52, s26
	s_add_i32 s27, s27, s28
	s_mul_hi_u32 s27, s52, s27
	s_sub_i32 s28, 0, s7
	s_ashr_i32 s35, s26, 31
	s_mul_i32 s28, s28, s15
	s_mul_i32 s26, s26, s14
	;; [unrolled: 1-line block ×3, first 2 shown]
	s_mul_hi_u32 s28, s15, s28
	s_sub_i32 s53, s6, s26
	s_sub_i32 s6, s52, s27
	s_ashr_i32 s25, s25, 31
	s_add_i32 s15, s15, s28
	s_sub_i32 s14, s6, s24
	s_cmp_ge_u32 s6, s24
	s_cselect_b32 s6, s14, s6
	s_sub_i32 s14, s6, s24
	s_mul_hi_u32 s15, s3, s15
	s_cmp_ge_u32 s6, s24
	s_cselect_b32 s6, s14, s6
	s_mul_i32 s14, s15, s7
	s_xor_b32 s6, s6, s35
	s_sub_i32 s3, s3, s14
	s_sub_i32 s82, s6, s35
	s_xor_b32 s6, s34, s25
	s_add_i32 s14, s15, 1
	s_sub_i32 s24, s3, s7
	s_cmp_ge_u32 s3, s7
	s_cselect_b32 s14, s14, s15
	s_load_dword s33, s[4:5], 0x108
	s_load_dwordx16 s[36:51], s[4:5], 0x68
	s_load_dwordx4 s[68:71], s[4:5], 0xf8
	s_load_dwordx4 s[28:31], s[4:5], 0xa8
	s_cselect_b32 s3, s24, s3
	s_add_i32 s15, s14, 1
	s_cmp_ge_u32 s3, s7
	s_cselect_b32 s3, s15, s14
	s_xor_b32 s3, s3, s6
	s_load_dwordx2 s[0:1], s[4:5], 0x20
	s_sub_i32 s3, s3, s6
	s_ashr_i32 s83, s82, 31
	s_ashr_i32 s84, s3, 31
	s_waitcnt lgkmcnt(0)
	s_mul_i32 s6, s30, s83
	s_mul_hi_u32 s7, s30, s82
	s_ashr_i32 s14, s53, 31
	s_add_i32 s6, s7, s6
	s_mul_i32 s7, s31, s82
	s_mul_i32 s14, s28, s14
	s_mul_hi_u32 s15, s28, s53
	s_mul_i32 s24, s46, s84
	s_mul_hi_u32 s25, s46, s3
	s_add_i32 s7, s6, s7
	s_mul_i32 s6, s30, s82
	s_add_i32 s14, s15, s14
	s_mul_i32 s15, s29, s53
	;; [unrolled: 2-line block ×3, first 2 shown]
	s_add_i32 s15, s14, s15
	s_add_i32 s25, s24, s25
	s_lshl_b64 s[6:7], s[6:7], 1
	s_mul_i32 s14, s28, s53
	s_mul_i32 s53, s53, s17
	s_load_dword s17, s[4:5], 0x11c
	s_add_u32 s6, s0, s6
	s_addc_u32 s7, s1, s7
	s_lshl_b64 s[0:1], s[14:15], 1
	s_mul_i32 s24, s46, s3
	s_add_u32 s6, s6, s0
	s_addc_u32 s7, s7, s1
	s_lshl_b64 s[0:1], s[24:25], 1
	s_add_u32 s74, s6, s0
	s_addc_u32 s75, s7, s1
	s_load_dwordx8 s[24:31], s[4:5], 0x0
	s_cmp_lt_i32 s70, 1
	s_cselect_b64 s[6:7], -1, 0
	s_sub_i32 s23, s53, s23
	s_cmp_gt_i32 s71, 0
	s_cselect_b64 s[14:15], -1, 0
	s_cmp_gt_i32 s33, 0
	s_cselect_b64 s[34:35], -1, 0
	s_cmp_gt_i32 s13, 0
	s_waitcnt lgkmcnt(0)
	v_cmp_neq_f64_e64 s[0:1], s[28:29], 1.0
	v_cmp_neq_f64_e64 s[52:53], s[30:31], 0
	s_cselect_b64 s[46:47], -1, 0
	s_abs_i32 s78, s2
	s_abs_i32 s80, s12
	;; [unrolled: 1-line block ×3, first 2 shown]
	v_cvt_f32_u32_e32 v1, s80
	v_cvt_f32_u32_e32 v2, s81
	;; [unrolled: 1-line block ×3, first 2 shown]
	s_or_b64 s[72:73], s[0:1], s[52:53]
	v_rcp_iflag_f32_e32 v1, v1
	v_rcp_iflag_f32_e32 v2, v2
	;; [unrolled: 1-line block ×3, first 2 shown]
	s_mul_i32 s0, s42, s84
	s_mul_hi_u32 s1, s42, s3
	s_load_dwordx16 s[52:67], s[4:5], 0x28
	s_add_i32 s0, s1, s0
	s_mul_i32 s1, s43, s3
	v_mul_f32_e32 v1, 0x4f7ffffe, v1
	v_mul_f32_e32 v2, 0x4f7ffffe, v2
	;; [unrolled: 1-line block ×3, first 2 shown]
	s_add_i32 s1, s0, s1
	s_mul_i32 s0, s42, s3
	v_cvt_u32_f32_e32 v1, v1
	v_cvt_u32_f32_e32 v2, v2
	;; [unrolled: 1-line block ×3, first 2 shown]
	s_and_b32 s76, s17, 0xffff
	s_ashr_i32 s77, s2, 31
	s_lshl_b64 s[0:1], s[0:1], 1
	s_ashr_i32 s79, s12, 31
	s_sub_i32 s85, 0, s80
	s_sub_i32 s4, 0, s81
	;; [unrolled: 1-line block ×3, first 2 shown]
	s_add_u32 s16, s26, s0
	s_addc_u32 s17, s27, s1
	s_waitcnt lgkmcnt(0)
	s_mul_i32 s0, s54, s84
	s_mul_hi_u32 s1, s54, s3
	s_add_i32 s0, s1, s0
	s_mul_i32 s1, s55, s3
	v_mul_lo_u32 v4, s85, v1
	v_mul_lo_u32 v5, s4, v2
	;; [unrolled: 1-line block ×3, first 2 shown]
	s_add_i32 s1, s0, s1
	s_mul_i32 s0, s54, s3
	s_mul_i32 s2, s62, s83
	s_mul_hi_u32 s3, s62, s82
	s_add_i32 s2, s3, s2
	s_mul_i32 s3, s63, s82
	s_add_i32 s3, s2, s3
	s_mul_i32 s2, s62, s82
	s_lshl_b64 s[0:1], s[0:1], 1
	s_lshl_b64 s[2:3], s[2:3], 1
	;; [unrolled: 1-line block ×7, first 2 shown]
	v_mul_hi_u32 v4, v1, v4
	v_mul_hi_u32 v5, v2, v5
	;; [unrolled: 1-line block ×3, first 2 shown]
	s_add_u32 s0, s0, s2
	s_addc_u32 s1, s1, s3
	s_add_u32 s64, s24, s0
	s_addc_u32 s65, s25, s1
	s_lshl_b64 s[24:25], s[60:61], 1
	s_lshl_b64 s[54:55], s[58:59], 1
	;; [unrolled: 1-line block ×4, first 2 shown]
	v_add_u32_e32 v15, v1, v4
	v_add_u32_e32 v16, v2, v5
	;; [unrolled: 1-line block ×3, first 2 shown]
	v_mov_b32_e32 v18, 0x7c00
	v_mov_b32_e32 v19, 0x7e00
	s_movk_i32 s66, 0x1ff
	s_movk_i32 s67, 0xffe
	;; [unrolled: 1-line block ×3, first 2 shown]
	s_mov_b32 s83, 0x8000
	s_mov_b64 s[58:59], 0
	s_branch .LBB61_3
.LBB61_2:                               ;   in Loop: Header=BB61_3 Depth=1
	v_add_u32_e32 v0, s76, v0
	v_cmp_le_i32_e32 vcc, s11, v0
	s_or_b64 s[58:59], vcc, s[58:59]
	s_andn2_b64 exec, exec, s[58:59]
	s_cbranch_execz .LBB61_23
.LBB61_3:                               ; =>This Loop Header: Depth=1
                                        ;     Child Loop BB61_8 Depth 2
                                        ;       Child Loop BB61_11 Depth 3
                                        ;         Child Loop BB61_14 Depth 4
                                        ;           Child Loop BB61_17 Depth 5
	v_sub_u32_e32 v1, 0, v0
	v_max_i32_e32 v5, v0, v1
	v_mul_hi_u32 v2, v5, v15
	v_ashrrev_i32_e32 v1, 31, v0
	v_xor_b32_e32 v4, s79, v1
	s_mov_b64 s[60:61], -1
	v_mul_lo_u32 v3, v2, s80
	v_add_u32_e32 v6, 1, v2
                                        ; implicit-def: $vgpr21
	v_sub_u32_e32 v3, v5, v3
	v_cmp_le_u32_e32 vcc, s80, v3
	v_cndmask_b32_e32 v2, v2, v6, vcc
	v_subrev_u32_e32 v6, s80, v3
	v_cndmask_b32_e32 v3, v3, v6, vcc
	v_add_u32_e32 v6, 1, v2
	v_cmp_le_u32_e32 vcc, s80, v3
	v_cndmask_b32_e32 v2, v2, v6, vcc
	v_xor_b32_e32 v2, v2, v4
	v_sub_u32_e32 v2, v2, v4
	v_sub_u32_e32 v3, 0, v2
	v_max_i32_e32 v4, v2, v3
	v_mul_hi_u32 v6, v4, v16
	v_mul_hi_u32 v3, v5, v17
	v_mul_lo_u32 v7, v2, s12
	v_mul_lo_u32 v6, v6, s81
	;; [unrolled: 1-line block ×3, first 2 shown]
	v_sub_u32_e32 v20, v0, v7
	v_sub_u32_e32 v4, v4, v6
	v_subrev_u32_e32 v6, s81, v4
	v_cmp_le_u32_e32 vcc, s81, v4
	v_sub_u32_e32 v5, v5, v8
	v_cndmask_b32_e32 v4, v4, v6, vcc
	v_subrev_u32_e32 v6, s78, v5
	v_cmp_le_u32_e64 s[0:1], s78, v5
	v_cndmask_b32_e64 v5, v5, v6, s[0:1]
	v_cmp_le_u32_e64 s[4:5], s81, v4
	v_cmp_le_u32_e64 s[2:3], s78, v5
	s_andn2_b64 vcc, exec, s[6:7]
	s_cbranch_vccnz .LBB61_5
; %bb.4:                                ;   in Loop: Header=BB61_3 Depth=1
	v_ashrrev_i32_e32 v21, 31, v20
	s_mov_b64 s[60:61], 0
.LBB61_5:                               ;   in Loop: Header=BB61_3 Depth=1
	v_subrev_u32_e32 v5, s81, v4
	v_ashrrev_i32_e32 v2, 31, v2
	v_cndmask_b32_e64 v4, v4, v5, s[4:5]
	v_xor_b32_e32 v4, v4, v2
	v_sub_u32_e32 v22, v4, v2
	v_xor_b32_e32 v4, s77, v1
	v_add_u32_e32 v1, 1, v3
	v_cndmask_b32_e64 v1, v3, v1, s[0:1]
	v_add_u32_e32 v2, 1, v1
	v_cndmask_b32_e64 v1, v1, v2, s[2:3]
	v_xor_b32_e32 v3, v1, v4
	v_mov_b32_e32 v1, 0
	v_mov_b32_e32 v2, 0
	s_andn2_b64 vcc, exec, s[60:61]
	v_sub_u32_e32 v23, v3, v4
	s_cbranch_vccnz .LBB61_19
; %bb.6:                                ;   in Loop: Header=BB61_3 Depth=1
	v_mov_b32_e32 v1, s16
	v_ashrrev_i32_e32 v21, 31, v20
	v_mov_b32_e32 v2, s17
	v_mad_u64_u32 v[3:4], s[0:1], s26, v20, v[1:2]
	v_mul_lo_u32 v1, s27, v20
	v_mul_lo_u32 v2, s26, v21
	;; [unrolled: 1-line block ×4, first 2 shown]
	s_mov_b32 s84, 0
	v_add3_u32 v4, v1, v4, v2
	v_mov_b32_e32 v1, 0
	v_subrev_u32_e32 v24, s68, v5
	v_subrev_u32_e32 v25, s69, v6
	v_mov_b32_e32 v2, 0
	s_mov_b32 s85, s23
	s_branch .LBB61_8
.LBB61_7:                               ;   in Loop: Header=BB61_8 Depth=2
	s_add_i32 s84, s84, 1
	v_mov_b32_e32 v5, s39
	s_add_i32 s85, s85, s20
	v_add_co_u32_e32 v3, vcc, s38, v3
	s_cmp_eq_u32 s84, s70
	v_addc_co_u32_e32 v4, vcc, v4, v5, vcc
	s_cbranch_scc1 .LBB61_19
.LBB61_8:                               ;   Parent Loop BB61_3 Depth=1
                                        ; =>  This Loop Header: Depth=2
                                        ;       Child Loop BB61_11 Depth 3
                                        ;         Child Loop BB61_14 Depth 4
                                        ;           Child Loop BB61_17 Depth 5
	s_andn2_b64 vcc, exec, s[14:15]
	s_cbranch_vccnz .LBB61_7
; %bb.9:                                ;   in Loop: Header=BB61_8 Depth=2
	s_mul_i32 s0, s25, s85
	s_mul_hi_u32 s1, s24, s85
	s_add_i32 s5, s1, s0
	s_mul_i32 s0, s84, s20
	s_add_i32 s2, s0, s23
	s_cmp_lt_i32 s2, 0
	s_cselect_b64 s[0:1], -1, 0
	s_cmp_ge_i32 s2, s8
	s_cselect_b64 s[2:3], -1, 0
	s_mul_i32 s4, s24, s85
	s_or_b64 s[2:3], s[0:1], s[2:3]
	s_add_u32 s4, s64, s4
	v_mov_b32_e32 v6, v4
	s_mov_b32 s86, 0
	s_addc_u32 s5, s65, s5
	v_mov_b32_e32 v26, v24
	v_mov_b32_e32 v5, v3
	s_branch .LBB61_11
.LBB61_10:                              ;   in Loop: Header=BB61_11 Depth=3
	s_add_i32 s86, s86, 1
	v_mov_b32_e32 v7, s37
	v_add_co_u32_e32 v5, vcc, s36, v5
	v_addc_co_u32_e32 v6, vcc, v6, v7, vcc
	s_cmp_eq_u32 s86, s71
	v_add_u32_e32 v26, s21, v26
	s_cbranch_scc1 .LBB61_7
.LBB61_11:                              ;   Parent Loop BB61_3 Depth=1
                                        ;     Parent Loop BB61_8 Depth=2
                                        ; =>    This Loop Header: Depth=3
                                        ;         Child Loop BB61_14 Depth 4
                                        ;           Child Loop BB61_17 Depth 5
	s_andn2_b64 vcc, exec, s[34:35]
	s_cbranch_vccnz .LBB61_10
; %bb.12:                               ;   in Loop: Header=BB61_11 Depth=3
	v_mov_b32_e32 v8, s5
	v_mov_b32_e32 v7, s4
	v_mad_u64_u32 v[7:8], s[0:1], s54, v26, v[7:8]
	s_mul_i32 s60, s86, s21
	v_add_u32_e32 v10, s60, v24
	v_mad_u64_u32 v[8:9], s[0:1], s55, v26, v[8:9]
	v_cmp_gt_i32_e32 vcc, 0, v10
	v_cmp_le_i32_e64 s[0:1], s9, v10
	s_or_b64 s[0:1], vcc, s[0:1]
	v_mov_b32_e32 v10, v6
	s_mov_b32 s87, 0
	s_or_b64 s[60:61], s[2:3], s[0:1]
	v_mov_b32_e32 v27, v25
	v_mov_b32_e32 v9, v5
	s_branch .LBB61_14
.LBB61_13:                              ;   in Loop: Header=BB61_14 Depth=4
	s_add_i32 s87, s87, 1
	v_mov_b32_e32 v11, s41
	v_add_co_u32_e32 v9, vcc, s40, v9
	v_addc_co_u32_e32 v10, vcc, v10, v11, vcc
	s_cmp_eq_u32 s87, s33
	v_add_u32_e32 v27, s22, v27
	s_cbranch_scc1 .LBB61_10
.LBB61_14:                              ;   Parent Loop BB61_3 Depth=1
                                        ;     Parent Loop BB61_8 Depth=2
                                        ;       Parent Loop BB61_11 Depth=3
                                        ; =>      This Loop Header: Depth=4
                                        ;           Child Loop BB61_17 Depth 5
	s_andn2_b64 vcc, exec, s[46:47]
	s_cbranch_vccnz .LBB61_13
; %bb.15:                               ;   in Loop: Header=BB61_14 Depth=4
	v_mad_u64_u32 v[11:12], s[0:1], s56, v27, v[7:8]
	s_mul_i32 s62, s87, s22
	s_mov_b32 s88, s13
	v_mad_u64_u32 v[12:13], s[0:1], s57, v27, v[12:13]
	v_add_u32_e32 v13, s62, v25
	v_cmp_gt_i32_e32 vcc, 0, v13
	v_cmp_le_i32_e64 s[0:1], s10, v13
	s_or_b64 s[0:1], vcc, s[0:1]
	v_mov_b32_e32 v14, v10
	s_nor_b64 s[0:1], s[60:61], s[0:1]
	v_mov_b32_e32 v13, v9
	s_branch .LBB61_17
.LBB61_16:                              ;   in Loop: Header=BB61_17 Depth=5
	s_or_b64 exec, exec, s[62:63]
	v_mov_b32_e32 v28, s43
	v_add_co_u32_e32 v13, vcc, s42, v13
	v_addc_co_u32_e32 v14, vcc, v14, v28, vcc
	s_add_i32 s88, s88, -1
	v_mov_b32_e32 v28, s53
	v_add_co_u32_e32 v11, vcc, s52, v11
	s_cmp_eq_u32 s88, 0
	v_addc_co_u32_e32 v12, vcc, v12, v28, vcc
	s_cbranch_scc1 .LBB61_13
.LBB61_17:                              ;   Parent Loop BB61_3 Depth=1
                                        ;     Parent Loop BB61_8 Depth=2
                                        ;       Parent Loop BB61_11 Depth=3
                                        ;         Parent Loop BB61_14 Depth=4
                                        ; =>        This Inner Loop Header: Depth=5
	s_and_saveexec_b64 s[62:63], s[0:1]
	s_cbranch_execz .LBB61_16
; %bb.18:                               ;   in Loop: Header=BB61_17 Depth=5
	global_load_ushort v28, v[11:12], off
	global_load_ushort v29, v[13:14], off
	s_waitcnt vmcnt(1)
	v_cvt_f32_f16_e32 v28, v28
	s_waitcnt vmcnt(0)
	v_cvt_f32_f16_e32 v30, v29
	v_cvt_f64_f32_e32 v[28:29], v28
	v_cvt_f64_f32_e32 v[30:31], v30
	v_fma_f64 v[1:2], v[28:29], v[30:31], v[1:2]
	s_branch .LBB61_16
.LBB61_19:                              ;   in Loop: Header=BB61_3 Depth=1
	v_ashrrev_i32_e32 v3, 31, v22
	v_mul_lo_u32 v5, s49, v22
	v_mul_lo_u32 v6, s48, v3
	v_mad_u64_u32 v[3:4], s[0:1], s48, v22, 0
	v_ashrrev_i32_e32 v7, 31, v23
	s_and_b64 vcc, exec, s[72:73]
	v_add3_u32 v4, v4, v6, v5
	v_mad_u64_u32 v[3:4], s[0:1], s50, v23, v[3:4]
	v_mul_lo_u32 v5, s51, v23
	v_mul_lo_u32 v6, s50, v7
	v_add3_u32 v4, v5, v4, v6
	v_mad_u64_u32 v[3:4], s[0:1], v20, s44, v[3:4]
	v_mul_lo_u32 v5, v20, s45
	v_mul_lo_u32 v6, v21, s44
	s_mov_b64 s[0:1], -1
	v_add3_u32 v4, v6, v4, v5
	s_cbranch_vccz .LBB61_21
; %bb.20:                               ;   in Loop: Header=BB61_3 Depth=1
	v_lshlrev_b64 v[5:6], 1, v[3:4]
	v_mov_b32_e32 v7, s75
	v_add_co_u32_e32 v5, vcc, s74, v5
	v_addc_co_u32_e32 v6, vcc, v7, v6, vcc
	global_load_ushort v7, v[5:6], off
	s_mov_b64 s[0:1], 0
	s_waitcnt vmcnt(0)
	v_cvt_f32_f16_e32 v7, v7
	v_cvt_f64_f32_e32 v[7:8], v7
	v_mul_f64 v[7:8], s[30:31], v[7:8]
	v_fma_f64 v[7:8], s[28:29], v[1:2], v[7:8]
	v_and_or_b32 v7, v8, s66, v7
	v_cmp_ne_u32_e32 vcc, 0, v7
	v_lshrrev_b32_e32 v9, 8, v8
	v_bfe_u32 v10, v8, 20, 11
	v_cndmask_b32_e64 v7, 0, 1, vcc
	v_sub_u32_e32 v11, 0x3f1, v10
	v_and_or_b32 v7, v9, s67, v7
	v_med3_i32 v9, v11, 0, 13
	v_or_b32_e32 v11, 0x1000, v7
	v_lshrrev_b32_e32 v13, v9, v11
	v_add_u32_e32 v10, 0xfffffc10, v10
	v_cmp_ne_u32_e32 vcc, 0, v7
	v_lshlrev_b32_e32 v9, v9, v13
	v_lshl_or_b32 v12, v10, 12, v7
	v_cndmask_b32_e32 v7, v18, v19, vcc
	v_cmp_ne_u32_e32 vcc, v9, v11
	v_cndmask_b32_e64 v9, 0, 1, vcc
	v_or_b32_e32 v9, v13, v9
	v_cmp_gt_i32_e32 vcc, 1, v10
	v_cndmask_b32_e32 v9, v12, v9, vcc
	v_and_b32_e32 v11, 7, v9
	v_cmp_lt_i32_e32 vcc, 5, v11
	v_cndmask_b32_e64 v12, 0, 1, vcc
	v_cmp_eq_u32_e32 vcc, 3, v11
	v_cndmask_b32_e64 v11, 0, 1, vcc
	v_lshrrev_b32_e32 v9, 2, v9
	v_or_b32_e32 v11, v11, v12
	v_add_u32_e32 v9, v9, v11
	v_cmp_gt_i32_e32 vcc, 31, v10
	v_cndmask_b32_e32 v9, v18, v9, vcc
	v_cmp_eq_u32_e32 vcc, s82, v10
	v_lshrrev_b32_e32 v8, 16, v8
	v_cndmask_b32_e32 v7, v9, v7, vcc
	v_and_or_b32 v7, v8, s83, v7
	global_store_short v[5:6], v7, off
.LBB61_21:                              ;   in Loop: Header=BB61_3 Depth=1
	s_andn2_b64 vcc, exec, s[0:1]
	s_cbranch_vccnz .LBB61_2
; %bb.22:                               ;   in Loop: Header=BB61_3 Depth=1
	v_and_or_b32 v1, v2, s66, v1
	v_cmp_ne_u32_e32 vcc, 0, v1
	v_cndmask_b32_e64 v1, 0, 1, vcc
	v_lshrrev_b32_e32 v5, 8, v2
	v_bfe_u32 v6, v2, 20, 11
	v_and_or_b32 v1, v5, s67, v1
	v_sub_u32_e32 v7, 0x3f1, v6
	v_or_b32_e32 v5, 0x1000, v1
	v_med3_i32 v7, v7, 0, 13
	v_lshrrev_b32_e32 v8, v7, v5
	v_lshlrev_b32_e32 v7, v7, v8
	v_cmp_ne_u32_e32 vcc, v7, v5
	v_cndmask_b32_e64 v5, 0, 1, vcc
	v_add_u32_e32 v6, 0xfffffc10, v6
	v_or_b32_e32 v5, v8, v5
	v_lshl_or_b32 v7, v6, 12, v1
	v_cmp_gt_i32_e32 vcc, 1, v6
	v_cndmask_b32_e32 v5, v7, v5, vcc
	v_and_b32_e32 v7, 7, v5
	v_cmp_lt_i32_e32 vcc, 5, v7
	v_cndmask_b32_e64 v8, 0, 1, vcc
	v_cmp_eq_u32_e32 vcc, 3, v7
	v_cndmask_b32_e64 v7, 0, 1, vcc
	v_or_b32_e32 v7, v7, v8
	v_lshrrev_b32_e32 v5, 2, v5
	v_add_u32_e32 v5, v5, v7
	v_cmp_gt_i32_e32 vcc, 31, v6
	v_cndmask_b32_e32 v5, v18, v5, vcc
	v_cmp_ne_u32_e32 vcc, 0, v1
	v_cndmask_b32_e32 v1, v18, v19, vcc
	v_cmp_eq_u32_e32 vcc, s82, v6
	v_cndmask_b32_e32 v1, v5, v1, vcc
	v_lshrrev_b32_e32 v2, 16, v2
	v_and_or_b32 v5, v2, s83, v1
	v_lshlrev_b64 v[1:2], 1, v[3:4]
	v_mov_b32_e32 v3, s75
	v_add_co_u32_e32 v1, vcc, s74, v1
	v_addc_co_u32_e32 v2, vcc, v3, v2, vcc
	global_store_short v[1:2], v5, off
	s_branch .LBB61_2
.LBB61_23:
	s_endpgm
	.section	.rodata,"a",@progbits
	.p2align	6, 0x0
	.amdhsa_kernel naive_conv_ab_nonpacked_fwd_ndhwc_half_double_half
		.amdhsa_group_segment_fixed_size 0
		.amdhsa_private_segment_fixed_size 0
		.amdhsa_kernarg_size 528
		.amdhsa_user_sgpr_count 6
		.amdhsa_user_sgpr_private_segment_buffer 1
		.amdhsa_user_sgpr_dispatch_ptr 0
		.amdhsa_user_sgpr_queue_ptr 0
		.amdhsa_user_sgpr_kernarg_segment_ptr 1
		.amdhsa_user_sgpr_dispatch_id 0
		.amdhsa_user_sgpr_flat_scratch_init 0
		.amdhsa_user_sgpr_private_segment_size 0
		.amdhsa_uses_dynamic_stack 0
		.amdhsa_system_sgpr_private_segment_wavefront_offset 0
		.amdhsa_system_sgpr_workgroup_id_x 1
		.amdhsa_system_sgpr_workgroup_id_y 0
		.amdhsa_system_sgpr_workgroup_id_z 0
		.amdhsa_system_sgpr_workgroup_info 0
		.amdhsa_system_vgpr_workitem_id 0
		.amdhsa_next_free_vgpr 32
		.amdhsa_next_free_sgpr 89
		.amdhsa_reserve_vcc 1
		.amdhsa_reserve_flat_scratch 0
		.amdhsa_float_round_mode_32 0
		.amdhsa_float_round_mode_16_64 0
		.amdhsa_float_denorm_mode_32 3
		.amdhsa_float_denorm_mode_16_64 3
		.amdhsa_dx10_clamp 1
		.amdhsa_ieee_mode 1
		.amdhsa_fp16_overflow 0
		.amdhsa_exception_fp_ieee_invalid_op 0
		.amdhsa_exception_fp_denorm_src 0
		.amdhsa_exception_fp_ieee_div_zero 0
		.amdhsa_exception_fp_ieee_overflow 0
		.amdhsa_exception_fp_ieee_underflow 0
		.amdhsa_exception_fp_ieee_inexact 0
		.amdhsa_exception_int_div_zero 0
	.end_amdhsa_kernel
	.text
.Lfunc_end61:
	.size	naive_conv_ab_nonpacked_fwd_ndhwc_half_double_half, .Lfunc_end61-naive_conv_ab_nonpacked_fwd_ndhwc_half_double_half
                                        ; -- End function
	.set naive_conv_ab_nonpacked_fwd_ndhwc_half_double_half.num_vgpr, 32
	.set naive_conv_ab_nonpacked_fwd_ndhwc_half_double_half.num_agpr, 0
	.set naive_conv_ab_nonpacked_fwd_ndhwc_half_double_half.numbered_sgpr, 89
	.set naive_conv_ab_nonpacked_fwd_ndhwc_half_double_half.num_named_barrier, 0
	.set naive_conv_ab_nonpacked_fwd_ndhwc_half_double_half.private_seg_size, 0
	.set naive_conv_ab_nonpacked_fwd_ndhwc_half_double_half.uses_vcc, 1
	.set naive_conv_ab_nonpacked_fwd_ndhwc_half_double_half.uses_flat_scratch, 0
	.set naive_conv_ab_nonpacked_fwd_ndhwc_half_double_half.has_dyn_sized_stack, 0
	.set naive_conv_ab_nonpacked_fwd_ndhwc_half_double_half.has_recursion, 0
	.set naive_conv_ab_nonpacked_fwd_ndhwc_half_double_half.has_indirect_call, 0
	.section	.AMDGPU.csdata,"",@progbits
; Kernel info:
; codeLenInByte = 2364
; TotalNumSgprs: 93
; NumVgprs: 32
; ScratchSize: 0
; MemoryBound: 0
; FloatMode: 240
; IeeeMode: 1
; LDSByteSize: 0 bytes/workgroup (compile time only)
; SGPRBlocks: 11
; VGPRBlocks: 7
; NumSGPRsForWavesPerEU: 93
; NumVGPRsForWavesPerEU: 32
; Occupancy: 8
; WaveLimiterHint : 1
; COMPUTE_PGM_RSRC2:SCRATCH_EN: 0
; COMPUTE_PGM_RSRC2:USER_SGPR: 6
; COMPUTE_PGM_RSRC2:TRAP_HANDLER: 0
; COMPUTE_PGM_RSRC2:TGID_X_EN: 1
; COMPUTE_PGM_RSRC2:TGID_Y_EN: 0
; COMPUTE_PGM_RSRC2:TGID_Z_EN: 0
; COMPUTE_PGM_RSRC2:TIDIG_COMP_CNT: 0
	.text
	.protected	naive_conv_ab_packed_fwd_ndhwc_ushort_double_ushort ; -- Begin function naive_conv_ab_packed_fwd_ndhwc_ushort_double_ushort
	.globl	naive_conv_ab_packed_fwd_ndhwc_ushort_double_ushort
	.p2align	8
	.type	naive_conv_ab_packed_fwd_ndhwc_ushort_double_ushort,@function
naive_conv_ab_packed_fwd_ndhwc_ushort_double_ushort: ; @naive_conv_ab_packed_fwd_ndhwc_ushort_double_ushort
; %bb.0:
	s_load_dwordx16 s[8:23], s[4:5], 0xb8
	s_abs_i32 s1, s6
	s_waitcnt lgkmcnt(0)
	s_abs_i32 s0, s14
	v_cvt_f32_u32_e32 v1, s0
	s_sub_i32 s3, 0, s0
	s_mul_i32 s2, s14, s11
	v_rcp_iflag_f32_e32 v1, v1
	v_mul_f32_e32 v1, 0x4f7ffffe, v1
	v_cvt_u32_f32_e32 v1, v1
	v_readfirstlane_b32 s7, v1
	s_mul_i32 s3, s3, s7
	s_mul_hi_u32 s3, s7, s3
	s_add_i32 s7, s7, s3
	s_mul_hi_u32 s3, s1, s7
	s_mul_i32 s7, s3, s0
	s_sub_i32 s7, s1, s7
	s_add_i32 s24, s3, 1
	s_sub_i32 s25, s7, s0
	s_cmp_ge_u32 s7, s0
	s_cselect_b32 s3, s24, s3
	s_cselect_b32 s7, s25, s7
	s_add_i32 s24, s3, 1
	s_cmp_ge_u32 s7, s0
	s_cselect_b32 s3, s24, s3
	s_abs_i32 s40, s11
	s_abs_i32 s7, s2
	v_cvt_f32_u32_e32 v1, s40
	v_cvt_f32_u32_e32 v2, s7
	s_mul_i32 s0, s16, s12
	s_mul_i32 s11, s0, s15
	v_rcp_iflag_f32_e32 v1, v1
	v_rcp_iflag_f32_e32 v2, v2
	v_cmp_gt_i32_e32 vcc, s11, v0
	v_mul_f32_e32 v1, 0x4f7ffffe, v1
	v_mul_f32_e32 v2, 0x4f7ffffe, v2
	v_cvt_u32_f32_e32 v1, v1
	v_cvt_u32_f32_e32 v2, v2
	v_readfirstlane_b32 s34, v1
	v_readfirstlane_b32 s33, v2
	s_and_saveexec_b64 s[24:25], vcc
	s_cbranch_execz .LBB62_23
; %bb.1:
	s_ashr_i32 s41, s6, 31
	s_ashr_i32 s35, s14, 31
	s_xor_b32 s35, s41, s35
	s_xor_b32 s3, s3, s35
	s_sub_i32 s42, s3, s35
	s_sub_i32 s3, 0, s40
	s_mul_i32 s3, s3, s34
	s_mul_hi_u32 s3, s34, s3
	s_abs_i32 s44, s42
	s_add_i32 s34, s34, s3
	s_ashr_i32 s46, s2, 31
	s_sub_i32 s2, 0, s7
	s_mul_hi_u32 s45, s44, s34
	s_mul_i32 s2, s2, s33
	s_mul_hi_u32 s2, s33, s2
	s_mul_i32 s45, s45, s40
	s_load_dwordx8 s[24:31], s[4:5], 0x0
	s_ashr_i32 s43, s42, 31
	s_add_i32 s33, s33, s2
	s_load_dwordx2 s[34:35], s[4:5], 0x108
	s_load_dwordx2 s[2:3], s[4:5], 0x20
	s_load_dwordx4 s[36:39], s[4:5], 0xf8
	s_load_dword s48, s[4:5], 0x11c
	s_mul_i32 s42, s42, s14
	s_sub_i32 s4, s44, s45
	s_sub_i32 s42, s6, s42
	s_sub_i32 s5, s4, s40
	s_cmp_ge_u32 s4, s40
	s_cselect_b32 s4, s5, s4
	s_sub_i32 s5, s4, s40
	s_mul_hi_u32 s47, s1, s33
	s_cmp_ge_u32 s4, s40
	s_cselect_b32 s4, s5, s4
	s_mul_i32 s5, s47, s7
	s_xor_b32 s4, s4, s43
	s_sub_i32 s1, s1, s5
	s_sub_i32 s49, s4, s43
	s_xor_b32 s4, s41, s46
	s_add_i32 s5, s47, 1
	s_sub_i32 s6, s1, s7
	s_cmp_ge_u32 s1, s7
	s_cselect_b32 s5, s5, s47
	s_cselect_b32 s1, s6, s1
	s_add_i32 s6, s5, 1
	s_cmp_ge_u32 s1, s7
	s_cselect_b32 s1, s6, s5
	s_waitcnt lgkmcnt(0)
	s_mul_i32 s33, s35, s12
	s_mul_i32 s35, s35, s13
	s_xor_b32 s1, s1, s4
	s_sub_i32 s50, s1, s4
	s_ashr_i32 s51, s49, 31
	s_ashr_i32 s52, s8, 31
	;; [unrolled: 1-line block ×7, first 2 shown]
	s_mul_hi_i32 s6, s49, s14
	s_mul_i32 s7, s49, s14
	s_ashr_i32 s63, s33, 31
	s_ashr_i32 s14, s42, 31
	s_add_u32 s40, s7, s42
	s_addc_u32 s6, s6, s14
	s_mul_i32 s14, s16, s15
	s_mul_hi_i32 s7, s16, s15
	s_mul_hi_u32 s15, s14, s33
	s_mul_i32 s41, s14, s63
	s_add_i32 s15, s15, s41
	s_mul_i32 s7, s7, s33
	s_mul_i32 s14, s14, s33
	s_add_i32 s7, s15, s7
	s_mul_i32 s6, s14, s6
	s_mul_hi_u32 s15, s14, s40
	s_add_i32 s6, s15, s6
	s_mul_i32 s7, s7, s40
	s_add_i32 s7, s6, s7
	s_mul_i32 s6, s14, s40
	s_lshl_b64 s[6:7], s[6:7], 1
	s_mul_hi_i32 s5, s50, s12
	s_mul_i32 s4, s50, s12
	s_add_u32 s2, s2, s6
	s_addc_u32 s3, s3, s7
	s_lshl_b64 s[6:7], s[4:5], 1
	s_add_u32 s64, s2, s6
	s_addc_u32 s65, s3, s7
	s_cmp_lt_i32 s38, 1
	s_mul_i32 s42, s42, s17
	s_cselect_b64 s[14:15], -1, 0
	s_sub_i32 s17, s42, s23
	s_cmp_gt_i32 s39, 0
	s_cselect_b64 s[40:41], -1, 0
	s_cmp_gt_i32 s34, 0
	s_cselect_b64 s[42:43], -1, 0
	;; [unrolled: 2-line block ×3, first 2 shown]
	s_abs_i32 s67, s0
	s_abs_i32 s69, s12
	;; [unrolled: 1-line block ×3, first 2 shown]
	v_cvt_f32_u32_e32 v1, s69
	v_cvt_f32_u32_e32 v2, s70
	;; [unrolled: 1-line block ×3, first 2 shown]
	v_cmp_neq_f64_e64 s[2:3], s[28:29], 1.0
	v_cmp_neq_f64_e64 s[4:5], s[30:31], 0
	v_rcp_iflag_f32_e32 v1, v1
	v_rcp_iflag_f32_e32 v2, v2
	;; [unrolled: 1-line block ×3, first 2 shown]
	s_and_b32 s23, s48, 0xffff
	v_mul_f32_e32 v1, 0x4f7ffffe, v1
	v_mul_f32_e32 v2, 0x4f7ffffe, v2
	;; [unrolled: 1-line block ×3, first 2 shown]
	v_cvt_u32_f32_e32 v1, v1
	v_cvt_u32_f32_e32 v2, v2
	;; [unrolled: 1-line block ×3, first 2 shown]
	s_or_b64 s[46:47], s[2:3], s[4:5]
	s_mul_hi_i32 s3, s13, s50
	s_mul_i32 s2, s13, s50
	s_ashr_i32 s66, s0, 31
	s_lshl_b64 s[2:3], s[2:3], 1
	s_ashr_i32 s68, s12, 31
	s_sub_i32 s0, 0, s69
	s_sub_i32 s4, 0, s70
	;; [unrolled: 1-line block ×3, first 2 shown]
	s_add_u32 s24, s24, s2
	s_mul_i32 s2, s10, s9
	s_addc_u32 s25, s25, s3
	s_mul_i32 s3, s2, s52
	s_mul_hi_u32 s48, s2, s8
	v_mul_lo_u32 v4, s0, v1
	v_mul_lo_u32 v5, s4, v2
	;; [unrolled: 1-line block ×3, first 2 shown]
	s_mul_i32 s0, s34, s39
	s_add_i32 s3, s48, s3
	s_mul_hi_i32 s48, s10, s9
	s_mul_i32 s4, s0, s1
	s_mul_hi_u32 s5, s0, s13
	s_mul_i32 s48, s48, s8
	s_mul_i32 s2, s2, s8
	s_add_i32 s4, s5, s4
	s_mul_hi_i32 s5, s34, s39
	s_add_i32 s3, s3, s48
	s_mul_i32 s48, s2, s51
	s_mul_hi_u32 s50, s2, s49
	s_mul_i32 s5, s5, s13
	s_add_i32 s48, s50, s48
	s_mul_i32 s3, s3, s49
	s_add_i32 s5, s4, s5
	s_mul_i32 s4, s0, s13
	v_mul_hi_u32 v4, v1, v4
	v_mul_hi_u32 v5, v2, v5
	;; [unrolled: 1-line block ×3, first 2 shown]
	s_add_i32 s3, s48, s3
	s_mul_i32 s0, s4, s53
	s_mul_hi_u32 s48, s4, s38
	s_mul_i32 s2, s2, s49
	s_add_i32 s0, s48, s0
	s_mul_i32 s48, s5, s38
	s_add_i32 s71, s0, s48
	s_mov_b32 s0, s13
	s_lshl_b64 s[48:49], s[2:3], 1
	s_mul_hi_i32 s3, s34, s13
	s_mul_i32 s2, s34, s13
	v_add_u32_e32 v18, v1, v4
	v_add_u32_e32 v19, v2, v5
	;; [unrolled: 1-line block ×3, first 2 shown]
	s_mul_i32 s72, s4, s38
	s_lshl_b64 s[50:51], s[4:5], 1
	s_lshl_b64 s[52:53], s[2:3], 1
	;; [unrolled: 1-line block ×3, first 2 shown]
	v_mov_b32_e32 v21, 0
	s_mov_b32 s73, 0x7f800000
	s_mov_b64 s[56:57], 0
	s_branch .LBB62_3
.LBB62_2:                               ;   in Loop: Header=BB62_3 Depth=1
	v_add_u32_e32 v0, s23, v0
	v_cmp_le_i32_e32 vcc, s11, v0
	s_or_b64 s[56:57], vcc, s[56:57]
	s_andn2_b64 exec, exec, s[56:57]
	s_cbranch_execz .LBB62_23
.LBB62_3:                               ; =>This Loop Header: Depth=1
                                        ;     Child Loop BB62_8 Depth 2
                                        ;       Child Loop BB62_11 Depth 3
                                        ;         Child Loop BB62_14 Depth 4
                                        ;           Child Loop BB62_17 Depth 5
	v_sub_u32_e32 v1, 0, v0
	v_max_i32_e32 v2, v0, v1
	v_mul_hi_u32 v1, v2, v18
	v_ashrrev_i32_e32 v3, 31, v0
	v_xor_b32_e32 v5, s68, v3
	s_mov_b64 s[58:59], -1
	v_mul_lo_u32 v4, v1, s69
	v_add_u32_e32 v6, 1, v1
	v_sub_u32_e32 v4, v2, v4
	v_cmp_le_u32_e32 vcc, s69, v4
	v_cndmask_b32_e32 v1, v1, v6, vcc
	v_subrev_u32_e32 v6, s69, v4
	v_cndmask_b32_e32 v4, v4, v6, vcc
	v_add_u32_e32 v6, 1, v1
	v_cmp_le_u32_e32 vcc, s69, v4
	v_cndmask_b32_e32 v1, v1, v6, vcc
	v_xor_b32_e32 v1, v1, v5
	v_sub_u32_e32 v4, v1, v5
	v_sub_u32_e32 v1, 0, v4
	v_max_i32_e32 v5, v4, v1
	v_mul_hi_u32 v1, v5, v19
	v_mul_hi_u32 v6, v2, v20
	v_mul_lo_u32 v7, v4, s12
	v_mul_lo_u32 v8, v1, s70
	;; [unrolled: 1-line block ×3, first 2 shown]
	v_sub_u32_e32 v1, v0, v7
	v_sub_u32_e32 v5, v5, v8
	v_subrev_u32_e32 v7, s70, v5
	v_cmp_le_u32_e32 vcc, s70, v5
	v_sub_u32_e32 v2, v2, v9
	v_cndmask_b32_e32 v5, v5, v7, vcc
	v_subrev_u32_e32 v7, s67, v2
	v_cmp_le_u32_e64 s[0:1], s67, v2
	v_cndmask_b32_e64 v2, v2, v7, s[0:1]
	v_cmp_le_u32_e64 s[4:5], s70, v5
	v_cmp_le_u32_e64 s[2:3], s67, v2
	s_andn2_b64 vcc, exec, s[14:15]
	s_cbranch_vccnz .LBB62_5
; %bb.4:                                ;   in Loop: Header=BB62_3 Depth=1
	v_ashrrev_i32_e32 v2, 31, v1
	s_mov_b64 s[58:59], 0
.LBB62_5:                               ;   in Loop: Header=BB62_3 Depth=1
	v_subrev_u32_e32 v7, s70, v5
	v_ashrrev_i32_e32 v4, 31, v4
	v_cndmask_b32_e64 v5, v5, v7, s[4:5]
	v_xor_b32_e32 v7, s66, v3
	v_add_u32_e32 v3, 1, v6
	v_xor_b32_e32 v5, v5, v4
	v_cndmask_b32_e64 v3, v6, v3, s[0:1]
	v_sub_u32_e32 v5, v5, v4
	v_add_u32_e32 v4, 1, v3
	v_cndmask_b32_e64 v3, v3, v4, s[2:3]
	v_xor_b32_e32 v6, v3, v7
	v_mov_b32_e32 v3, 0
	v_mov_b32_e32 v4, 0
	s_andn2_b64 vcc, exec, s[58:59]
	v_sub_u32_e32 v22, v6, v7
	s_cbranch_vccnz .LBB62_19
; %bb.6:                                ;   in Loop: Header=BB62_3 Depth=1
	v_ashrrev_i32_e32 v2, 31, v1
	v_lshlrev_b64 v[3:4], 1, v[1:2]
	v_mov_b32_e32 v6, s7
	v_add_co_u32_e32 v7, vcc, s6, v3
	v_addc_co_u32_e32 v3, vcc, v6, v4, vcc
	v_mul_lo_u32 v10, s72, v3
	v_mov_b32_e32 v3, s26
	v_mov_b32_e32 v4, s27
	v_mul_lo_u32 v8, v22, s18
	v_mul_lo_u32 v9, v5, s19
	;; [unrolled: 1-line block ×3, first 2 shown]
	v_mad_u64_u32 v[6:7], s[0:1], s72, v7, v[3:4]
	v_mov_b32_e32 v3, 0
	v_subrev_u32_e32 v23, s36, v8
	v_subrev_u32_e32 v24, s37, v9
	v_add3_u32 v7, v11, v7, v10
	s_mov_b32 s74, 0
	v_mov_b32_e32 v4, 0
	s_mov_b32 s75, s17
	s_branch .LBB62_8
.LBB62_7:                               ;   in Loop: Header=BB62_8 Depth=2
	s_add_i32 s74, s74, 1
	s_add_i32 s75, s75, s20
	v_mov_b32_e32 v8, s51
	v_add_co_u32_e32 v6, vcc, s50, v6
	s_cmp_eq_u32 s74, s38
	v_addc_co_u32_e32 v7, vcc, v7, v8, vcc
	s_cbranch_scc1 .LBB62_19
.LBB62_8:                               ;   Parent Loop BB62_3 Depth=1
                                        ; =>  This Loop Header: Depth=2
                                        ;       Child Loop BB62_11 Depth 3
                                        ;         Child Loop BB62_14 Depth 4
                                        ;           Child Loop BB62_17 Depth 5
	s_andn2_b64 vcc, exec, s[40:41]
	s_cbranch_vccnz .LBB62_7
; %bb.9:                                ;   in Loop: Header=BB62_8 Depth=2
	s_mul_i32 s0, s60, s75
	s_mul_hi_u32 s1, s9, s75
	s_add_i32 s76, s1, s0
	s_mul_i32 s0, s74, s20
	s_add_i32 s2, s0, s17
	s_cmp_lt_i32 s2, 0
	s_cselect_b64 s[0:1], -1, 0
	s_cmp_ge_i32 s2, s8
	s_cselect_b64 s[2:3], -1, 0
	v_mov_b32_e32 v9, v7
	s_mul_i32 s77, s9, s75
	s_mov_b32 s78, 0
	s_or_b64 s[2:3], s[0:1], s[2:3]
	v_mov_b32_e32 v8, v6
	v_mov_b32_e32 v25, v23
	s_branch .LBB62_11
.LBB62_10:                              ;   in Loop: Header=BB62_11 Depth=3
	s_add_i32 s78, s78, 1
	v_mov_b32_e32 v10, s53
	v_add_co_u32_e32 v8, vcc, s52, v8
	v_add_u32_e32 v25, s21, v25
	s_cmp_eq_u32 s78, s39
	v_addc_co_u32_e32 v9, vcc, v9, v10, vcc
	s_cbranch_scc1 .LBB62_7
.LBB62_11:                              ;   Parent Loop BB62_3 Depth=1
                                        ;     Parent Loop BB62_8 Depth=2
                                        ; =>    This Loop Header: Depth=3
                                        ;         Child Loop BB62_14 Depth 4
                                        ;           Child Loop BB62_17 Depth 5
	s_andn2_b64 vcc, exec, s[42:43]
	s_cbranch_vccnz .LBB62_10
; %bb.12:                               ;   in Loop: Header=BB62_11 Depth=3
	v_mov_b32_e32 v10, s76
	v_add_co_u32_e32 v11, vcc, s77, v25
	v_addc_co_u32_e32 v10, vcc, 0, v10, vcc
	v_mul_lo_u32 v12, s61, v11
	v_mul_lo_u32 v13, s10, v10
	v_mad_u64_u32 v[10:11], s[0:1], s10, v11, 0
	s_mul_i32 s0, s78, s21
	s_mov_b32 s79, 0
	v_add3_u32 v11, v11, v13, v12
	v_add_u32_e32 v12, s0, v23
	v_cmp_gt_i32_e32 vcc, 0, v12
	v_cmp_le_i32_e64 s[0:1], s9, v12
	s_or_b64 s[0:1], vcc, s[0:1]
	v_mov_b32_e32 v13, v9
	s_or_b64 s[4:5], s[2:3], s[0:1]
	v_mov_b32_e32 v12, v8
	v_mov_b32_e32 v26, v24
	s_branch .LBB62_14
.LBB62_13:                              ;   in Loop: Header=BB62_14 Depth=4
	s_add_i32 s79, s79, 1
	v_mov_b32_e32 v14, s55
	v_add_co_u32_e32 v12, vcc, s54, v12
	v_add_u32_e32 v26, s22, v26
	s_cmp_eq_u32 s79, s34
	v_addc_co_u32_e32 v13, vcc, v13, v14, vcc
	s_cbranch_scc1 .LBB62_10
.LBB62_14:                              ;   Parent Loop BB62_3 Depth=1
                                        ;     Parent Loop BB62_8 Depth=2
                                        ;       Parent Loop BB62_11 Depth=3
                                        ; =>      This Loop Header: Depth=4
                                        ;           Child Loop BB62_17 Depth 5
	s_andn2_b64 vcc, exec, s[44:45]
	s_cbranch_vccnz .LBB62_13
; %bb.15:                               ;   in Loop: Header=BB62_14 Depth=4
	v_add_co_u32_e32 v14, vcc, v10, v26
	v_addc_co_u32_e32 v15, vcc, 0, v11, vcc
	v_lshlrev_b64 v[14:15], 1, v[14:15]
	v_mov_b32_e32 v16, s49
	v_add_co_u32_e32 v17, vcc, s48, v14
	v_addc_co_u32_e32 v14, vcc, v16, v15, vcc
	v_mul_lo_u32 v16, s35, v14
	v_mov_b32_e32 v14, s24
	v_mov_b32_e32 v15, s25
	v_mul_lo_u32 v27, s62, v17
	v_mad_u64_u32 v[14:15], s[0:1], s35, v17, v[14:15]
	s_mul_i32 s0, s79, s22
	s_mov_b32 s80, s13
	v_add3_u32 v15, v27, v15, v16
	v_add_u32_e32 v16, s0, v24
	v_cmp_gt_i32_e32 vcc, 0, v16
	v_cmp_le_i32_e64 s[0:1], s10, v16
	s_or_b64 s[0:1], vcc, s[0:1]
	v_mov_b32_e32 v17, v13
	s_nor_b64 s[0:1], s[4:5], s[0:1]
	v_mov_b32_e32 v16, v12
	s_branch .LBB62_17
.LBB62_16:                              ;   in Loop: Header=BB62_17 Depth=5
	s_or_b64 exec, exec, s[58:59]
	v_add_co_u32_e32 v14, vcc, 2, v14
	v_addc_co_u32_e32 v15, vcc, 0, v15, vcc
	s_add_i32 s80, s80, -1
	v_add_co_u32_e32 v16, vcc, 2, v16
	s_cmp_eq_u32 s80, 0
	v_addc_co_u32_e32 v17, vcc, 0, v17, vcc
	s_cbranch_scc1 .LBB62_13
.LBB62_17:                              ;   Parent Loop BB62_3 Depth=1
                                        ;     Parent Loop BB62_8 Depth=2
                                        ;       Parent Loop BB62_11 Depth=3
                                        ;         Parent Loop BB62_14 Depth=4
                                        ; =>        This Inner Loop Header: Depth=5
	s_and_saveexec_b64 s[58:59], s[0:1]
	s_cbranch_execz .LBB62_16
; %bb.18:                               ;   in Loop: Header=BB62_17 Depth=5
	global_load_ushort v27, v[14:15], off
	global_load_ushort v28, v[16:17], off
	s_waitcnt vmcnt(1)
	v_lshlrev_b32_e32 v29, 16, v27
	s_waitcnt vmcnt(0)
	v_lshlrev_b32_e32 v27, 16, v28
	v_cvt_f64_f32_e32 v[27:28], v27
	v_cvt_f64_f32_e32 v[29:30], v29
	v_fma_f64 v[3:4], v[29:30], v[27:28], v[3:4]
	s_branch .LBB62_16
.LBB62_19:                              ;   in Loop: Header=BB62_3 Depth=1
	v_ashrrev_i32_e32 v6, 31, v5
	v_mad_i64_i32 v[5:6], s[0:1], v22, s16, v[5:6]
	s_and_b64 vcc, exec, s[46:47]
	v_mul_lo_u32 v7, v5, s63
	v_mul_lo_u32 v6, v6, s33
	v_mad_u64_u32 v[1:2], s[0:1], v5, s33, v[1:2]
	s_mov_b64 s[0:1], -1
	v_add3_u32 v2, v6, v2, v7
	s_cbranch_vccz .LBB62_21
; %bb.20:                               ;   in Loop: Header=BB62_3 Depth=1
	v_lshlrev_b64 v[5:6], 1, v[1:2]
	v_mov_b32_e32 v7, s65
	v_add_co_u32_e32 v5, vcc, s64, v5
	v_addc_co_u32_e32 v6, vcc, v7, v6, vcc
	global_load_ushort v7, v[5:6], off
	s_waitcnt vmcnt(0)
	v_lshlrev_b32_e32 v7, 16, v7
	v_cvt_f64_f32_e32 v[7:8], v7
	v_mul_f64 v[7:8], s[30:31], v[7:8]
	v_fma_f64 v[7:8], s[28:29], v[3:4], v[7:8]
	v_cvt_f32_f64_e32 v7, v[7:8]
	v_and_b32_e32 v8, 0x7f800000, v7
	v_cmp_ne_u32_sdwa s[0:1], v7, v21 src0_sel:WORD_0 src1_sel:DWORD
	v_cmp_eq_u32_e32 vcc, s73, v8
	s_and_b64 s[0:1], vcc, s[0:1]
	v_cndmask_b32_e64 v8, 0, 1, s[0:1]
	v_or_b32_sdwa v7, v7, v8 dst_sel:DWORD dst_unused:UNUSED_PAD src0_sel:WORD_1 src1_sel:DWORD
	global_store_short v[5:6], v7, off
	s_mov_b64 s[0:1], 0
.LBB62_21:                              ;   in Loop: Header=BB62_3 Depth=1
	s_andn2_b64 vcc, exec, s[0:1]
	s_cbranch_vccnz .LBB62_2
; %bb.22:                               ;   in Loop: Header=BB62_3 Depth=1
	v_cvt_f32_f64_e32 v3, v[3:4]
	v_lshlrev_b64 v[1:2], 1, v[1:2]
	v_and_b32_e32 v4, 0x7f800000, v3
	v_cmp_ne_u32_sdwa s[0:1], v3, v21 src0_sel:WORD_0 src1_sel:DWORD
	v_cmp_eq_u32_e32 vcc, s73, v4
	s_and_b64 s[0:1], vcc, s[0:1]
	v_cndmask_b32_e64 v4, 0, 1, s[0:1]
	v_or_b32_sdwa v3, v3, v4 dst_sel:DWORD dst_unused:UNUSED_PAD src0_sel:WORD_1 src1_sel:DWORD
	v_mov_b32_e32 v4, s65
	v_add_co_u32_e32 v1, vcc, s64, v1
	v_addc_co_u32_e32 v2, vcc, v4, v2, vcc
	global_store_short v[1:2], v3, off
	s_branch .LBB62_2
.LBB62_23:
	s_endpgm
	.section	.rodata,"a",@progbits
	.p2align	6, 0x0
	.amdhsa_kernel naive_conv_ab_packed_fwd_ndhwc_ushort_double_ushort
		.amdhsa_group_segment_fixed_size 0
		.amdhsa_private_segment_fixed_size 0
		.amdhsa_kernarg_size 528
		.amdhsa_user_sgpr_count 6
		.amdhsa_user_sgpr_private_segment_buffer 1
		.amdhsa_user_sgpr_dispatch_ptr 0
		.amdhsa_user_sgpr_queue_ptr 0
		.amdhsa_user_sgpr_kernarg_segment_ptr 1
		.amdhsa_user_sgpr_dispatch_id 0
		.amdhsa_user_sgpr_flat_scratch_init 0
		.amdhsa_user_sgpr_private_segment_size 0
		.amdhsa_uses_dynamic_stack 0
		.amdhsa_system_sgpr_private_segment_wavefront_offset 0
		.amdhsa_system_sgpr_workgroup_id_x 1
		.amdhsa_system_sgpr_workgroup_id_y 0
		.amdhsa_system_sgpr_workgroup_id_z 0
		.amdhsa_system_sgpr_workgroup_info 0
		.amdhsa_system_vgpr_workitem_id 0
		.amdhsa_next_free_vgpr 31
		.amdhsa_next_free_sgpr 81
		.amdhsa_reserve_vcc 1
		.amdhsa_reserve_flat_scratch 0
		.amdhsa_float_round_mode_32 0
		.amdhsa_float_round_mode_16_64 0
		.amdhsa_float_denorm_mode_32 3
		.amdhsa_float_denorm_mode_16_64 3
		.amdhsa_dx10_clamp 1
		.amdhsa_ieee_mode 1
		.amdhsa_fp16_overflow 0
		.amdhsa_exception_fp_ieee_invalid_op 0
		.amdhsa_exception_fp_denorm_src 0
		.amdhsa_exception_fp_ieee_div_zero 0
		.amdhsa_exception_fp_ieee_overflow 0
		.amdhsa_exception_fp_ieee_underflow 0
		.amdhsa_exception_fp_ieee_inexact 0
		.amdhsa_exception_int_div_zero 0
	.end_amdhsa_kernel
	.text
.Lfunc_end62:
	.size	naive_conv_ab_packed_fwd_ndhwc_ushort_double_ushort, .Lfunc_end62-naive_conv_ab_packed_fwd_ndhwc_ushort_double_ushort
                                        ; -- End function
	.set naive_conv_ab_packed_fwd_ndhwc_ushort_double_ushort.num_vgpr, 31
	.set naive_conv_ab_packed_fwd_ndhwc_ushort_double_ushort.num_agpr, 0
	.set naive_conv_ab_packed_fwd_ndhwc_ushort_double_ushort.numbered_sgpr, 81
	.set naive_conv_ab_packed_fwd_ndhwc_ushort_double_ushort.num_named_barrier, 0
	.set naive_conv_ab_packed_fwd_ndhwc_ushort_double_ushort.private_seg_size, 0
	.set naive_conv_ab_packed_fwd_ndhwc_ushort_double_ushort.uses_vcc, 1
	.set naive_conv_ab_packed_fwd_ndhwc_ushort_double_ushort.uses_flat_scratch, 0
	.set naive_conv_ab_packed_fwd_ndhwc_ushort_double_ushort.has_dyn_sized_stack, 0
	.set naive_conv_ab_packed_fwd_ndhwc_ushort_double_ushort.has_recursion, 0
	.set naive_conv_ab_packed_fwd_ndhwc_ushort_double_ushort.has_indirect_call, 0
	.section	.AMDGPU.csdata,"",@progbits
; Kernel info:
; codeLenInByte = 2080
; TotalNumSgprs: 85
; NumVgprs: 31
; ScratchSize: 0
; MemoryBound: 0
; FloatMode: 240
; IeeeMode: 1
; LDSByteSize: 0 bytes/workgroup (compile time only)
; SGPRBlocks: 10
; VGPRBlocks: 7
; NumSGPRsForWavesPerEU: 85
; NumVGPRsForWavesPerEU: 31
; Occupancy: 8
; WaveLimiterHint : 1
; COMPUTE_PGM_RSRC2:SCRATCH_EN: 0
; COMPUTE_PGM_RSRC2:USER_SGPR: 6
; COMPUTE_PGM_RSRC2:TRAP_HANDLER: 0
; COMPUTE_PGM_RSRC2:TGID_X_EN: 1
; COMPUTE_PGM_RSRC2:TGID_Y_EN: 0
; COMPUTE_PGM_RSRC2:TGID_Z_EN: 0
; COMPUTE_PGM_RSRC2:TIDIG_COMP_CNT: 0
	.text
	.protected	naive_conv_ab_nonpacked_fwd_ndhwc_ushort_double_ushort ; -- Begin function naive_conv_ab_nonpacked_fwd_ndhwc_ushort_double_ushort
	.globl	naive_conv_ab_nonpacked_fwd_ndhwc_ushort_double_ushort
	.p2align	8
	.type	naive_conv_ab_nonpacked_fwd_ndhwc_ushort_double_ushort,@function
naive_conv_ab_nonpacked_fwd_ndhwc_ushort_double_ushort: ; @naive_conv_ab_nonpacked_fwd_ndhwc_ushort_double_ushort
; %bb.0:
	s_load_dwordx16 s[8:23], s[4:5], 0xb8
	s_abs_i32 s3, s6
	s_waitcnt lgkmcnt(0)
	s_abs_i32 s0, s14
	v_cvt_f32_u32_e32 v1, s0
	s_sub_i32 s1, 0, s0
	s_mul_i32 s25, s14, s11
	v_rcp_iflag_f32_e32 v1, v1
	v_mul_f32_e32 v1, 0x4f7ffffe, v1
	v_cvt_u32_f32_e32 v1, v1
	v_readfirstlane_b32 s2, v1
	s_mul_i32 s1, s1, s2
	s_mul_hi_u32 s1, s2, s1
	s_add_i32 s2, s2, s1
	s_mul_hi_u32 s1, s3, s2
	s_mul_i32 s2, s1, s0
	s_sub_i32 s2, s3, s2
	s_add_i32 s7, s1, 1
	s_sub_i32 s24, s2, s0
	s_cmp_ge_u32 s2, s0
	s_cselect_b32 s1, s7, s1
	s_cselect_b32 s2, s24, s2
	s_add_i32 s7, s1, 1
	s_cmp_ge_u32 s2, s0
	s_cselect_b32 s26, s7, s1
	s_abs_i32 s24, s11
	s_abs_i32 s7, s25
	v_cvt_f32_u32_e32 v1, s24
	v_cvt_f32_u32_e32 v2, s7
	s_mul_i32 s2, s16, s12
	s_mul_i32 s11, s2, s15
	v_rcp_iflag_f32_e32 v1, v1
	v_rcp_iflag_f32_e32 v2, v2
	v_cmp_gt_i32_e32 vcc, s11, v0
	v_mul_f32_e32 v1, 0x4f7ffffe, v1
	v_mul_f32_e32 v2, 0x4f7ffffe, v2
	v_cvt_u32_f32_e32 v1, v1
	v_cvt_u32_f32_e32 v2, v2
	v_readfirstlane_b32 s27, v1
	v_readfirstlane_b32 s15, v2
	s_and_saveexec_b64 s[0:1], vcc
	s_cbranch_execz .LBB63_23
; %bb.1:
	s_ashr_i32 s34, s6, 31
	s_ashr_i32 s28, s14, 31
	s_xor_b32 s28, s34, s28
	s_xor_b32 s26, s26, s28
	s_sub_i32 s26, s26, s28
	s_sub_i32 s28, 0, s24
	s_mul_i32 s28, s28, s27
	s_mul_hi_u32 s28, s27, s28
	s_abs_i32 s52, s26
	s_add_i32 s27, s27, s28
	s_mul_hi_u32 s27, s52, s27
	s_sub_i32 s28, 0, s7
	s_ashr_i32 s35, s26, 31
	s_mul_i32 s28, s28, s15
	s_mul_i32 s26, s26, s14
	s_mul_i32 s27, s27, s24
	s_mul_hi_u32 s28, s15, s28
	s_sub_i32 s53, s6, s26
	s_sub_i32 s6, s52, s27
	s_ashr_i32 s25, s25, 31
	s_add_i32 s15, s15, s28
	s_sub_i32 s14, s6, s24
	s_cmp_ge_u32 s6, s24
	s_cselect_b32 s6, s14, s6
	s_sub_i32 s14, s6, s24
	s_mul_hi_u32 s15, s3, s15
	s_cmp_ge_u32 s6, s24
	s_cselect_b32 s6, s14, s6
	s_mul_i32 s14, s15, s7
	s_xor_b32 s6, s6, s35
	s_sub_i32 s3, s3, s14
	s_sub_i32 s82, s6, s35
	s_xor_b32 s6, s34, s25
	s_add_i32 s14, s15, 1
	s_sub_i32 s24, s3, s7
	s_cmp_ge_u32 s3, s7
	s_cselect_b32 s14, s14, s15
	s_load_dword s33, s[4:5], 0x108
	s_load_dwordx16 s[36:51], s[4:5], 0x68
	s_load_dwordx4 s[68:71], s[4:5], 0xf8
	s_load_dwordx4 s[28:31], s[4:5], 0xa8
	s_cselect_b32 s3, s24, s3
	s_add_i32 s15, s14, 1
	s_cmp_ge_u32 s3, s7
	s_cselect_b32 s3, s15, s14
	s_xor_b32 s3, s3, s6
	s_load_dwordx2 s[0:1], s[4:5], 0x20
	s_sub_i32 s3, s3, s6
	s_ashr_i32 s83, s82, 31
	s_ashr_i32 s84, s3, 31
	s_waitcnt lgkmcnt(0)
	s_mul_i32 s6, s30, s83
	s_mul_hi_u32 s7, s30, s82
	s_ashr_i32 s14, s53, 31
	s_add_i32 s6, s7, s6
	s_mul_i32 s7, s31, s82
	s_mul_i32 s14, s28, s14
	s_mul_hi_u32 s15, s28, s53
	s_mul_i32 s24, s46, s84
	s_mul_hi_u32 s25, s46, s3
	s_add_i32 s7, s6, s7
	s_mul_i32 s6, s30, s82
	s_add_i32 s14, s15, s14
	s_mul_i32 s15, s29, s53
	;; [unrolled: 2-line block ×3, first 2 shown]
	s_add_i32 s15, s14, s15
	s_add_i32 s25, s24, s25
	s_lshl_b64 s[6:7], s[6:7], 1
	s_mul_i32 s14, s28, s53
	s_mul_i32 s53, s53, s17
	s_load_dword s17, s[4:5], 0x11c
	s_add_u32 s6, s0, s6
	s_addc_u32 s7, s1, s7
	s_lshl_b64 s[0:1], s[14:15], 1
	s_mul_i32 s24, s46, s3
	s_add_u32 s6, s6, s0
	s_addc_u32 s7, s7, s1
	s_lshl_b64 s[0:1], s[24:25], 1
	s_add_u32 s74, s6, s0
	s_addc_u32 s75, s7, s1
	s_load_dwordx8 s[24:31], s[4:5], 0x0
	s_cmp_lt_i32 s70, 1
	s_cselect_b64 s[6:7], -1, 0
	s_sub_i32 s23, s53, s23
	s_cmp_gt_i32 s71, 0
	s_cselect_b64 s[14:15], -1, 0
	s_cmp_gt_i32 s33, 0
	s_cselect_b64 s[34:35], -1, 0
	s_cmp_gt_i32 s13, 0
	s_waitcnt lgkmcnt(0)
	v_cmp_neq_f64_e64 s[0:1], s[28:29], 1.0
	v_cmp_neq_f64_e64 s[52:53], s[30:31], 0
	s_cselect_b64 s[46:47], -1, 0
	s_abs_i32 s78, s2
	s_abs_i32 s80, s12
	;; [unrolled: 1-line block ×3, first 2 shown]
	v_cvt_f32_u32_e32 v1, s80
	v_cvt_f32_u32_e32 v2, s81
	;; [unrolled: 1-line block ×3, first 2 shown]
	s_or_b64 s[72:73], s[0:1], s[52:53]
	v_rcp_iflag_f32_e32 v1, v1
	v_rcp_iflag_f32_e32 v2, v2
	;; [unrolled: 1-line block ×3, first 2 shown]
	s_mul_i32 s0, s42, s84
	s_mul_hi_u32 s1, s42, s3
	s_load_dwordx16 s[52:67], s[4:5], 0x28
	s_add_i32 s0, s1, s0
	s_mul_i32 s1, s43, s3
	v_mul_f32_e32 v1, 0x4f7ffffe, v1
	v_mul_f32_e32 v2, 0x4f7ffffe, v2
	;; [unrolled: 1-line block ×3, first 2 shown]
	s_add_i32 s1, s0, s1
	s_mul_i32 s0, s42, s3
	v_cvt_u32_f32_e32 v1, v1
	v_cvt_u32_f32_e32 v2, v2
	v_cvt_u32_f32_e32 v3, v3
	s_and_b32 s76, s17, 0xffff
	s_ashr_i32 s77, s2, 31
	s_lshl_b64 s[0:1], s[0:1], 1
	s_ashr_i32 s79, s12, 31
	s_sub_i32 s85, 0, s80
	s_sub_i32 s4, 0, s81
	;; [unrolled: 1-line block ×3, first 2 shown]
	s_add_u32 s16, s26, s0
	s_addc_u32 s17, s27, s1
	s_waitcnt lgkmcnt(0)
	s_mul_i32 s0, s54, s84
	s_mul_hi_u32 s1, s54, s3
	s_add_i32 s0, s1, s0
	s_mul_i32 s1, s55, s3
	v_mul_lo_u32 v4, s85, v1
	v_mul_lo_u32 v5, s4, v2
	;; [unrolled: 1-line block ×3, first 2 shown]
	s_add_i32 s1, s0, s1
	s_mul_i32 s0, s54, s3
	s_mul_i32 s2, s62, s83
	s_mul_hi_u32 s3, s62, s82
	s_add_i32 s2, s3, s2
	s_mul_i32 s3, s63, s82
	s_add_i32 s3, s2, s3
	s_mul_i32 s2, s62, s82
	s_lshl_b64 s[0:1], s[0:1], 1
	s_lshl_b64 s[2:3], s[2:3], 1
	;; [unrolled: 1-line block ×7, first 2 shown]
	v_mul_hi_u32 v4, v1, v4
	v_mul_hi_u32 v5, v2, v5
	;; [unrolled: 1-line block ×3, first 2 shown]
	s_add_u32 s0, s0, s2
	s_addc_u32 s1, s1, s3
	s_add_u32 s64, s24, s0
	s_addc_u32 s65, s25, s1
	s_lshl_b64 s[24:25], s[60:61], 1
	s_lshl_b64 s[54:55], s[58:59], 1
	;; [unrolled: 1-line block ×4, first 2 shown]
	v_add_u32_e32 v15, v1, v4
	v_add_u32_e32 v16, v2, v5
	;; [unrolled: 1-line block ×3, first 2 shown]
	v_mov_b32_e32 v18, 0
	s_mov_b32 s66, 0x7f800000
	s_mov_b64 s[58:59], 0
	s_branch .LBB63_3
.LBB63_2:                               ;   in Loop: Header=BB63_3 Depth=1
	v_add_u32_e32 v0, s76, v0
	v_cmp_le_i32_e32 vcc, s11, v0
	s_or_b64 s[58:59], vcc, s[58:59]
	s_andn2_b64 exec, exec, s[58:59]
	s_cbranch_execz .LBB63_23
.LBB63_3:                               ; =>This Loop Header: Depth=1
                                        ;     Child Loop BB63_8 Depth 2
                                        ;       Child Loop BB63_11 Depth 3
                                        ;         Child Loop BB63_14 Depth 4
                                        ;           Child Loop BB63_17 Depth 5
	v_sub_u32_e32 v1, 0, v0
	v_max_i32_e32 v5, v0, v1
	v_mul_hi_u32 v2, v5, v15
	v_ashrrev_i32_e32 v1, 31, v0
	v_xor_b32_e32 v4, s79, v1
	s_mov_b64 s[60:61], -1
	v_mul_lo_u32 v3, v2, s80
	v_add_u32_e32 v6, 1, v2
                                        ; implicit-def: $vgpr20
	v_sub_u32_e32 v3, v5, v3
	v_cmp_le_u32_e32 vcc, s80, v3
	v_cndmask_b32_e32 v2, v2, v6, vcc
	v_subrev_u32_e32 v6, s80, v3
	v_cndmask_b32_e32 v3, v3, v6, vcc
	v_add_u32_e32 v6, 1, v2
	v_cmp_le_u32_e32 vcc, s80, v3
	v_cndmask_b32_e32 v2, v2, v6, vcc
	v_xor_b32_e32 v2, v2, v4
	v_sub_u32_e32 v2, v2, v4
	v_sub_u32_e32 v3, 0, v2
	v_max_i32_e32 v4, v2, v3
	v_mul_hi_u32 v6, v4, v16
	v_mul_hi_u32 v3, v5, v17
	v_mul_lo_u32 v7, v2, s12
	v_mul_lo_u32 v6, v6, s81
	;; [unrolled: 1-line block ×3, first 2 shown]
	v_sub_u32_e32 v19, v0, v7
	v_sub_u32_e32 v4, v4, v6
	v_subrev_u32_e32 v6, s81, v4
	v_cmp_le_u32_e32 vcc, s81, v4
	v_sub_u32_e32 v5, v5, v8
	v_cndmask_b32_e32 v4, v4, v6, vcc
	v_subrev_u32_e32 v6, s78, v5
	v_cmp_le_u32_e64 s[0:1], s78, v5
	v_cndmask_b32_e64 v5, v5, v6, s[0:1]
	v_cmp_le_u32_e64 s[4:5], s81, v4
	v_cmp_le_u32_e64 s[2:3], s78, v5
	s_andn2_b64 vcc, exec, s[6:7]
	s_cbranch_vccnz .LBB63_5
; %bb.4:                                ;   in Loop: Header=BB63_3 Depth=1
	v_ashrrev_i32_e32 v20, 31, v19
	s_mov_b64 s[60:61], 0
.LBB63_5:                               ;   in Loop: Header=BB63_3 Depth=1
	v_subrev_u32_e32 v5, s81, v4
	v_ashrrev_i32_e32 v2, 31, v2
	v_cndmask_b32_e64 v4, v4, v5, s[4:5]
	v_xor_b32_e32 v4, v4, v2
	v_sub_u32_e32 v21, v4, v2
	v_xor_b32_e32 v4, s77, v1
	v_add_u32_e32 v1, 1, v3
	v_cndmask_b32_e64 v1, v3, v1, s[0:1]
	v_add_u32_e32 v2, 1, v1
	v_cndmask_b32_e64 v1, v1, v2, s[2:3]
	v_xor_b32_e32 v3, v1, v4
	v_mov_b32_e32 v1, 0
	v_mov_b32_e32 v2, 0
	s_andn2_b64 vcc, exec, s[60:61]
	v_sub_u32_e32 v22, v3, v4
	s_cbranch_vccnz .LBB63_19
; %bb.6:                                ;   in Loop: Header=BB63_3 Depth=1
	v_mov_b32_e32 v1, s16
	v_ashrrev_i32_e32 v20, 31, v19
	v_mov_b32_e32 v2, s17
	v_mad_u64_u32 v[3:4], s[0:1], s26, v19, v[1:2]
	v_mul_lo_u32 v1, s27, v19
	v_mul_lo_u32 v2, s26, v20
	;; [unrolled: 1-line block ×4, first 2 shown]
	s_mov_b32 s67, 0
	v_add3_u32 v4, v1, v4, v2
	v_mov_b32_e32 v1, 0
	v_subrev_u32_e32 v23, s68, v5
	v_subrev_u32_e32 v24, s69, v6
	v_mov_b32_e32 v2, 0
	s_mov_b32 s82, s23
	s_branch .LBB63_8
.LBB63_7:                               ;   in Loop: Header=BB63_8 Depth=2
	s_add_i32 s67, s67, 1
	v_mov_b32_e32 v5, s39
	s_add_i32 s82, s82, s20
	v_add_co_u32_e32 v3, vcc, s38, v3
	s_cmp_eq_u32 s67, s70
	v_addc_co_u32_e32 v4, vcc, v4, v5, vcc
	s_cbranch_scc1 .LBB63_19
.LBB63_8:                               ;   Parent Loop BB63_3 Depth=1
                                        ; =>  This Loop Header: Depth=2
                                        ;       Child Loop BB63_11 Depth 3
                                        ;         Child Loop BB63_14 Depth 4
                                        ;           Child Loop BB63_17 Depth 5
	s_andn2_b64 vcc, exec, s[14:15]
	s_cbranch_vccnz .LBB63_7
; %bb.9:                                ;   in Loop: Header=BB63_8 Depth=2
	s_mul_i32 s0, s25, s82
	s_mul_hi_u32 s1, s24, s82
	s_add_i32 s5, s1, s0
	s_mul_i32 s0, s67, s20
	s_add_i32 s2, s0, s23
	s_cmp_lt_i32 s2, 0
	s_cselect_b64 s[0:1], -1, 0
	s_cmp_ge_i32 s2, s8
	s_cselect_b64 s[2:3], -1, 0
	s_mul_i32 s4, s24, s82
	s_or_b64 s[2:3], s[0:1], s[2:3]
	s_add_u32 s4, s64, s4
	v_mov_b32_e32 v6, v4
	s_mov_b32 s83, 0
	s_addc_u32 s5, s65, s5
	v_mov_b32_e32 v25, v23
	v_mov_b32_e32 v5, v3
	s_branch .LBB63_11
.LBB63_10:                              ;   in Loop: Header=BB63_11 Depth=3
	s_add_i32 s83, s83, 1
	v_mov_b32_e32 v7, s37
	v_add_co_u32_e32 v5, vcc, s36, v5
	v_addc_co_u32_e32 v6, vcc, v6, v7, vcc
	s_cmp_eq_u32 s83, s71
	v_add_u32_e32 v25, s21, v25
	s_cbranch_scc1 .LBB63_7
.LBB63_11:                              ;   Parent Loop BB63_3 Depth=1
                                        ;     Parent Loop BB63_8 Depth=2
                                        ; =>    This Loop Header: Depth=3
                                        ;         Child Loop BB63_14 Depth 4
                                        ;           Child Loop BB63_17 Depth 5
	s_andn2_b64 vcc, exec, s[34:35]
	s_cbranch_vccnz .LBB63_10
; %bb.12:                               ;   in Loop: Header=BB63_11 Depth=3
	v_mov_b32_e32 v8, s5
	v_mov_b32_e32 v7, s4
	v_mad_u64_u32 v[7:8], s[0:1], s54, v25, v[7:8]
	s_mul_i32 s60, s83, s21
	v_add_u32_e32 v10, s60, v23
	v_mad_u64_u32 v[8:9], s[0:1], s55, v25, v[8:9]
	v_cmp_gt_i32_e32 vcc, 0, v10
	v_cmp_le_i32_e64 s[0:1], s9, v10
	s_or_b64 s[0:1], vcc, s[0:1]
	v_mov_b32_e32 v10, v6
	s_mov_b32 s84, 0
	s_or_b64 s[60:61], s[2:3], s[0:1]
	v_mov_b32_e32 v26, v24
	v_mov_b32_e32 v9, v5
	s_branch .LBB63_14
.LBB63_13:                              ;   in Loop: Header=BB63_14 Depth=4
	s_add_i32 s84, s84, 1
	v_mov_b32_e32 v11, s41
	v_add_co_u32_e32 v9, vcc, s40, v9
	v_addc_co_u32_e32 v10, vcc, v10, v11, vcc
	s_cmp_eq_u32 s84, s33
	v_add_u32_e32 v26, s22, v26
	s_cbranch_scc1 .LBB63_10
.LBB63_14:                              ;   Parent Loop BB63_3 Depth=1
                                        ;     Parent Loop BB63_8 Depth=2
                                        ;       Parent Loop BB63_11 Depth=3
                                        ; =>      This Loop Header: Depth=4
                                        ;           Child Loop BB63_17 Depth 5
	s_andn2_b64 vcc, exec, s[46:47]
	s_cbranch_vccnz .LBB63_13
; %bb.15:                               ;   in Loop: Header=BB63_14 Depth=4
	v_mad_u64_u32 v[11:12], s[0:1], s56, v26, v[7:8]
	s_mul_i32 s62, s84, s22
	s_mov_b32 s85, s13
	v_mad_u64_u32 v[12:13], s[0:1], s57, v26, v[12:13]
	v_add_u32_e32 v13, s62, v24
	v_cmp_gt_i32_e32 vcc, 0, v13
	v_cmp_le_i32_e64 s[0:1], s10, v13
	s_or_b64 s[0:1], vcc, s[0:1]
	v_mov_b32_e32 v14, v10
	s_nor_b64 s[0:1], s[60:61], s[0:1]
	v_mov_b32_e32 v13, v9
	s_branch .LBB63_17
.LBB63_16:                              ;   in Loop: Header=BB63_17 Depth=5
	s_or_b64 exec, exec, s[62:63]
	v_mov_b32_e32 v27, s43
	v_add_co_u32_e32 v13, vcc, s42, v13
	v_addc_co_u32_e32 v14, vcc, v14, v27, vcc
	s_add_i32 s85, s85, -1
	v_mov_b32_e32 v27, s53
	v_add_co_u32_e32 v11, vcc, s52, v11
	s_cmp_eq_u32 s85, 0
	v_addc_co_u32_e32 v12, vcc, v12, v27, vcc
	s_cbranch_scc1 .LBB63_13
.LBB63_17:                              ;   Parent Loop BB63_3 Depth=1
                                        ;     Parent Loop BB63_8 Depth=2
                                        ;       Parent Loop BB63_11 Depth=3
                                        ;         Parent Loop BB63_14 Depth=4
                                        ; =>        This Inner Loop Header: Depth=5
	s_and_saveexec_b64 s[62:63], s[0:1]
	s_cbranch_execz .LBB63_16
; %bb.18:                               ;   in Loop: Header=BB63_17 Depth=5
	global_load_ushort v27, v[11:12], off
	global_load_ushort v28, v[13:14], off
	s_waitcnt vmcnt(1)
	v_lshlrev_b32_e32 v29, 16, v27
	s_waitcnt vmcnt(0)
	v_lshlrev_b32_e32 v27, 16, v28
	v_cvt_f64_f32_e32 v[27:28], v27
	v_cvt_f64_f32_e32 v[29:30], v29
	v_fma_f64 v[1:2], v[29:30], v[27:28], v[1:2]
	s_branch .LBB63_16
.LBB63_19:                              ;   in Loop: Header=BB63_3 Depth=1
	v_ashrrev_i32_e32 v3, 31, v21
	v_mul_lo_u32 v5, s49, v21
	v_mul_lo_u32 v6, s48, v3
	v_mad_u64_u32 v[3:4], s[0:1], s48, v21, 0
	v_ashrrev_i32_e32 v7, 31, v22
	s_and_b64 vcc, exec, s[72:73]
	v_add3_u32 v4, v4, v6, v5
	v_mad_u64_u32 v[3:4], s[0:1], s50, v22, v[3:4]
	v_mul_lo_u32 v5, s51, v22
	v_mul_lo_u32 v6, s50, v7
	v_add3_u32 v4, v5, v4, v6
	v_mad_u64_u32 v[3:4], s[0:1], v19, s44, v[3:4]
	v_mul_lo_u32 v5, v19, s45
	v_mul_lo_u32 v6, v20, s44
	s_mov_b64 s[0:1], -1
	v_add3_u32 v4, v6, v4, v5
	s_cbranch_vccz .LBB63_21
; %bb.20:                               ;   in Loop: Header=BB63_3 Depth=1
	v_lshlrev_b64 v[5:6], 1, v[3:4]
	v_mov_b32_e32 v7, s75
	v_add_co_u32_e32 v5, vcc, s74, v5
	v_addc_co_u32_e32 v6, vcc, v7, v6, vcc
	global_load_ushort v7, v[5:6], off
	s_waitcnt vmcnt(0)
	v_lshlrev_b32_e32 v7, 16, v7
	v_cvt_f64_f32_e32 v[7:8], v7
	v_mul_f64 v[7:8], s[30:31], v[7:8]
	v_fma_f64 v[7:8], s[28:29], v[1:2], v[7:8]
	v_cvt_f32_f64_e32 v7, v[7:8]
	v_and_b32_e32 v8, 0x7f800000, v7
	v_cmp_ne_u32_sdwa s[0:1], v7, v18 src0_sel:WORD_0 src1_sel:DWORD
	v_cmp_eq_u32_e32 vcc, s66, v8
	s_and_b64 s[0:1], vcc, s[0:1]
	v_cndmask_b32_e64 v8, 0, 1, s[0:1]
	v_or_b32_sdwa v7, v7, v8 dst_sel:DWORD dst_unused:UNUSED_PAD src0_sel:WORD_1 src1_sel:DWORD
	global_store_short v[5:6], v7, off
	s_mov_b64 s[0:1], 0
.LBB63_21:                              ;   in Loop: Header=BB63_3 Depth=1
	s_andn2_b64 vcc, exec, s[0:1]
	s_cbranch_vccnz .LBB63_2
; %bb.22:                               ;   in Loop: Header=BB63_3 Depth=1
	v_cvt_f32_f64_e32 v5, v[1:2]
	v_lshlrev_b64 v[1:2], 1, v[3:4]
	v_mov_b32_e32 v4, s75
	v_and_b32_e32 v3, 0x7f800000, v5
	v_cmp_ne_u32_sdwa s[0:1], v5, v18 src0_sel:WORD_0 src1_sel:DWORD
	v_cmp_eq_u32_e32 vcc, s66, v3
	s_and_b64 s[0:1], vcc, s[0:1]
	v_cndmask_b32_e64 v3, 0, 1, s[0:1]
	v_add_co_u32_e32 v1, vcc, s74, v1
	v_or_b32_sdwa v3, v5, v3 dst_sel:DWORD dst_unused:UNUSED_PAD src0_sel:WORD_1 src1_sel:DWORD
	v_addc_co_u32_e32 v2, vcc, v4, v2, vcc
	global_store_short v[1:2], v3, off
	s_branch .LBB63_2
.LBB63_23:
	s_endpgm
	.section	.rodata,"a",@progbits
	.p2align	6, 0x0
	.amdhsa_kernel naive_conv_ab_nonpacked_fwd_ndhwc_ushort_double_ushort
		.amdhsa_group_segment_fixed_size 0
		.amdhsa_private_segment_fixed_size 0
		.amdhsa_kernarg_size 528
		.amdhsa_user_sgpr_count 6
		.amdhsa_user_sgpr_private_segment_buffer 1
		.amdhsa_user_sgpr_dispatch_ptr 0
		.amdhsa_user_sgpr_queue_ptr 0
		.amdhsa_user_sgpr_kernarg_segment_ptr 1
		.amdhsa_user_sgpr_dispatch_id 0
		.amdhsa_user_sgpr_flat_scratch_init 0
		.amdhsa_user_sgpr_private_segment_size 0
		.amdhsa_uses_dynamic_stack 0
		.amdhsa_system_sgpr_private_segment_wavefront_offset 0
		.amdhsa_system_sgpr_workgroup_id_x 1
		.amdhsa_system_sgpr_workgroup_id_y 0
		.amdhsa_system_sgpr_workgroup_id_z 0
		.amdhsa_system_sgpr_workgroup_info 0
		.amdhsa_system_vgpr_workitem_id 0
		.amdhsa_next_free_vgpr 31
		.amdhsa_next_free_sgpr 86
		.amdhsa_reserve_vcc 1
		.amdhsa_reserve_flat_scratch 0
		.amdhsa_float_round_mode_32 0
		.amdhsa_float_round_mode_16_64 0
		.amdhsa_float_denorm_mode_32 3
		.amdhsa_float_denorm_mode_16_64 3
		.amdhsa_dx10_clamp 1
		.amdhsa_ieee_mode 1
		.amdhsa_fp16_overflow 0
		.amdhsa_exception_fp_ieee_invalid_op 0
		.amdhsa_exception_fp_denorm_src 0
		.amdhsa_exception_fp_ieee_div_zero 0
		.amdhsa_exception_fp_ieee_overflow 0
		.amdhsa_exception_fp_ieee_underflow 0
		.amdhsa_exception_fp_ieee_inexact 0
		.amdhsa_exception_int_div_zero 0
	.end_amdhsa_kernel
	.text
.Lfunc_end63:
	.size	naive_conv_ab_nonpacked_fwd_ndhwc_ushort_double_ushort, .Lfunc_end63-naive_conv_ab_nonpacked_fwd_ndhwc_ushort_double_ushort
                                        ; -- End function
	.set naive_conv_ab_nonpacked_fwd_ndhwc_ushort_double_ushort.num_vgpr, 31
	.set naive_conv_ab_nonpacked_fwd_ndhwc_ushort_double_ushort.num_agpr, 0
	.set naive_conv_ab_nonpacked_fwd_ndhwc_ushort_double_ushort.numbered_sgpr, 86
	.set naive_conv_ab_nonpacked_fwd_ndhwc_ushort_double_ushort.num_named_barrier, 0
	.set naive_conv_ab_nonpacked_fwd_ndhwc_ushort_double_ushort.private_seg_size, 0
	.set naive_conv_ab_nonpacked_fwd_ndhwc_ushort_double_ushort.uses_vcc, 1
	.set naive_conv_ab_nonpacked_fwd_ndhwc_ushort_double_ushort.uses_flat_scratch, 0
	.set naive_conv_ab_nonpacked_fwd_ndhwc_ushort_double_ushort.has_dyn_sized_stack, 0
	.set naive_conv_ab_nonpacked_fwd_ndhwc_ushort_double_ushort.has_recursion, 0
	.set naive_conv_ab_nonpacked_fwd_ndhwc_ushort_double_ushort.has_indirect_call, 0
	.section	.AMDGPU.csdata,"",@progbits
; Kernel info:
; codeLenInByte = 2052
; TotalNumSgprs: 90
; NumVgprs: 31
; ScratchSize: 0
; MemoryBound: 0
; FloatMode: 240
; IeeeMode: 1
; LDSByteSize: 0 bytes/workgroup (compile time only)
; SGPRBlocks: 11
; VGPRBlocks: 7
; NumSGPRsForWavesPerEU: 90
; NumVGPRsForWavesPerEU: 31
; Occupancy: 8
; WaveLimiterHint : 1
; COMPUTE_PGM_RSRC2:SCRATCH_EN: 0
; COMPUTE_PGM_RSRC2:USER_SGPR: 6
; COMPUTE_PGM_RSRC2:TRAP_HANDLER: 0
; COMPUTE_PGM_RSRC2:TGID_X_EN: 1
; COMPUTE_PGM_RSRC2:TGID_Y_EN: 0
; COMPUTE_PGM_RSRC2:TGID_Z_EN: 0
; COMPUTE_PGM_RSRC2:TIDIG_COMP_CNT: 0
	.text
	.protected	naive_conv_ab_packed_fwd_ndhwc_int8_t_int32_t_int32_t ; -- Begin function naive_conv_ab_packed_fwd_ndhwc_int8_t_int32_t_int32_t
	.globl	naive_conv_ab_packed_fwd_ndhwc_int8_t_int32_t_int32_t
	.p2align	8
	.type	naive_conv_ab_packed_fwd_ndhwc_int8_t_int32_t_int32_t,@function
naive_conv_ab_packed_fwd_ndhwc_int8_t_int32_t_int32_t: ; @naive_conv_ab_packed_fwd_ndhwc_int8_t_int32_t_int32_t
; %bb.0:
	s_load_dwordx16 s[8:23], s[4:5], 0xb8
	s_abs_i32 s3, s6
	s_waitcnt lgkmcnt(0)
	s_abs_i32 s1, s14
	v_cvt_f32_u32_e32 v1, s1
	s_sub_i32 s2, 0, s1
	s_mul_i32 s0, s14, s11
	v_rcp_iflag_f32_e32 v1, v1
	v_mul_f32_e32 v1, 0x4f7ffffe, v1
	v_cvt_u32_f32_e32 v1, v1
	v_readfirstlane_b32 s7, v1
	s_mul_i32 s2, s2, s7
	s_mul_hi_u32 s2, s7, s2
	s_add_i32 s7, s7, s2
	s_mul_hi_u32 s2, s3, s7
	s_mul_i32 s7, s2, s1
	s_sub_i32 s7, s3, s7
	s_add_i32 s24, s2, 1
	s_sub_i32 s25, s7, s1
	s_cmp_ge_u32 s7, s1
	s_cselect_b32 s2, s24, s2
	s_cselect_b32 s7, s25, s7
	s_add_i32 s24, s2, 1
	s_cmp_ge_u32 s7, s1
	s_cselect_b32 s1, s24, s2
	s_abs_i32 s40, s11
	s_abs_i32 s7, s0
	v_cvt_f32_u32_e32 v1, s40
	v_cvt_f32_u32_e32 v2, s7
	s_mul_i32 s2, s16, s12
	s_mul_i32 s11, s2, s15
	v_rcp_iflag_f32_e32 v1, v1
	v_rcp_iflag_f32_e32 v2, v2
	v_cmp_gt_i32_e32 vcc, s11, v0
	v_mul_f32_e32 v1, 0x4f7ffffe, v1
	v_mul_f32_e32 v2, 0x4f7ffffe, v2
	v_cvt_u32_f32_e32 v1, v1
	v_cvt_u32_f32_e32 v2, v2
	v_readfirstlane_b32 s34, v1
	v_readfirstlane_b32 s33, v2
	s_and_saveexec_b64 s[24:25], vcc
	s_cbranch_execz .LBB64_23
; %bb.1:
	s_ashr_i32 s41, s6, 31
	s_ashr_i32 s35, s14, 31
	s_xor_b32 s35, s41, s35
	s_xor_b32 s1, s1, s35
	s_sub_i32 s42, s1, s35
	s_sub_i32 s1, 0, s40
	s_mul_i32 s1, s1, s34
	s_mul_hi_u32 s1, s34, s1
	s_abs_i32 s44, s42
	s_add_i32 s34, s34, s1
	s_ashr_i32 s46, s0, 31
	s_sub_i32 s0, 0, s7
	s_mul_hi_u32 s45, s44, s34
	s_mul_i32 s0, s0, s33
	s_mul_hi_u32 s0, s33, s0
	s_mul_i32 s45, s45, s40
	s_load_dwordx8 s[24:31], s[4:5], 0x0
	s_ashr_i32 s43, s42, 31
	s_add_i32 s33, s33, s0
	s_load_dwordx2 s[34:35], s[4:5], 0x108
	s_load_dwordx2 s[0:1], s[4:5], 0x20
	s_load_dwordx4 s[36:39], s[4:5], 0xf8
	s_load_dword s55, s[4:5], 0x11c
	s_mul_i32 s42, s42, s14
	s_sub_i32 s4, s44, s45
	s_sub_i32 s42, s6, s42
	;; [unrolled: 1-line block ×3, first 2 shown]
	s_cmp_ge_u32 s4, s40
	s_cselect_b32 s4, s5, s4
	s_sub_i32 s5, s4, s40
	s_mul_hi_u32 s47, s3, s33
	s_cmp_ge_u32 s4, s40
	s_cselect_b32 s4, s5, s4
	s_mul_i32 s5, s47, s7
	s_xor_b32 s4, s4, s43
	s_sub_i32 s3, s3, s5
	s_sub_i32 s64, s4, s43
	s_xor_b32 s4, s41, s46
	s_add_i32 s5, s47, 1
	s_sub_i32 s6, s3, s7
	s_cmp_ge_u32 s3, s7
	s_cselect_b32 s5, s5, s47
	s_cselect_b32 s3, s6, s3
	s_add_i32 s6, s5, 1
	s_cmp_ge_u32 s3, s7
	s_cselect_b32 s3, s6, s5
	s_waitcnt lgkmcnt(0)
	s_mul_i32 s33, s35, s12
	s_mul_i32 s35, s35, s13
	s_xor_b32 s3, s3, s4
	s_sub_i32 s3, s3, s4
	s_ashr_i32 s48, s9, 31
	s_ashr_i32 s49, s10, 31
	;; [unrolled: 1-line block ×5, first 2 shown]
	s_mul_hi_i32 s4, s64, s14
	s_mul_i32 s5, s64, s14
	s_ashr_i32 s52, s33, 31
	s_ashr_i32 s14, s42, 31
	s_add_u32 s40, s5, s42
	s_addc_u32 s4, s4, s14
	s_mul_i32 s14, s16, s15
	s_mul_hi_i32 s5, s16, s15
	s_mul_hi_u32 s15, s14, s33
	s_mul_i32 s41, s14, s52
	s_add_i32 s15, s15, s41
	s_mul_i32 s5, s5, s33
	s_mul_i32 s14, s14, s33
	s_add_i32 s5, s15, s5
	s_mul_i32 s4, s14, s4
	s_mul_hi_u32 s15, s14, s40
	s_add_i32 s4, s15, s4
	s_mul_i32 s5, s5, s40
	s_add_i32 s5, s4, s5
	s_mul_i32 s4, s14, s40
	s_lshl_b64 s[4:5], s[4:5], 2
	s_mul_hi_i32 s7, s3, s12
	s_mul_i32 s6, s3, s12
	s_add_u32 s4, s0, s4
	s_addc_u32 s5, s1, s5
	s_lshl_b64 s[0:1], s[6:7], 2
	s_add_u32 s53, s4, s0
	s_addc_u32 s54, s5, s1
	s_cmp_lt_i32 s38, 1
	s_mul_i32 s42, s42, s17
	s_cselect_b64 s[14:15], -1, 0
	s_sub_i32 s17, s42, s23
	s_cmp_gt_i32 s39, 0
	s_cselect_b64 s[40:41], -1, 0
	s_cmp_gt_i32 s34, 0
	s_cselect_b64 s[42:43], -1, 0
	;; [unrolled: 2-line block ×3, first 2 shown]
	s_abs_i32 s23, s12
	v_cvt_f32_u32_e32 v1, s23
	s_abs_i32 s56, s16
	v_cvt_f32_u32_e32 v2, s56
	;; [unrolled: 2-line block ×3, first 2 shown]
	v_cmp_neq_f64_e64 s[0:1], s[28:29], 1.0
	v_cmp_neq_f64_e64 s[4:5], s[30:31], 0
	v_rcp_iflag_f32_e32 v1, v1
	v_rcp_iflag_f32_e32 v2, v2
	;; [unrolled: 1-line block ×3, first 2 shown]
	s_and_b32 s55, s55, 0xffff
	v_mul_f32_e32 v1, 0x4f7ffffe, v1
	v_cvt_u32_f32_e32 v1, v1
	v_mul_f32_e32 v2, 0x4f7ffffe, v2
	v_cvt_u32_f32_e32 v2, v2
	v_mul_f32_e32 v3, 0x4f7ffffe, v3
	s_or_b64 s[46:47], s[0:1], s[4:5]
	s_sub_i32 s1, 0, s23
	v_cvt_u32_f32_e32 v3, v3
	v_mul_lo_u32 v4, s1, v1
	s_sub_i32 s1, 0, s56
	s_mul_hi_i32 s0, s3, s13
	s_mul_i32 s3, s3, s13
	v_mul_lo_u32 v5, s1, v2
	s_sub_i32 s1, 0, s57
	s_ashr_i32 s58, s12, 31
	s_ashr_i32 s59, s2, 31
	s_add_u32 s24, s24, s3
	v_mul_lo_u32 v6, s1, v3
	s_addc_u32 s25, s25, s0
	s_mul_i32 s0, s34, s39
	s_mul_i32 s60, s0, s13
	;; [unrolled: 1-line block ×3, first 2 shown]
	s_mul_hi_u32 s2, s60, s38
	s_add_i32 s1, s2, s1
	s_mul_i32 s2, s0, s51
	s_mul_hi_u32 s0, s0, s13
	s_add_i32 s0, s0, s2
	s_mul_hi_i32 s2, s34, s39
	v_mul_hi_u32 v4, v1, v4
	v_mul_hi_u32 v5, v2, v5
	;; [unrolled: 1-line block ×3, first 2 shown]
	s_mul_i32 s2, s2, s13
	v_cvt_i32_f64_e32 v16, s[28:29]
	v_cvt_i32_f64_e32 v17, s[30:31]
	s_add_i32 s61, s0, s2
	s_mul_i32 s0, s61, s38
	s_add_i32 s62, s1, s0
	v_add_u32_e32 v18, v1, v4
	v_add_u32_e32 v19, v2, v5
	v_add_u32_e32 v20, v3, v6
	s_mul_hi_i32 s63, s8, s64
	s_mul_i32 s64, s8, s64
	s_mov_b32 s65, s13
	s_mul_i32 s66, s60, s38
	s_mul_hi_i32 s67, s34, s13
	s_mul_i32 s68, s34, s13
	s_mov_b64 s[28:29], 0
	s_branch .LBB64_3
.LBB64_2:                               ;   in Loop: Header=BB64_3 Depth=1
	v_add_u32_e32 v0, s55, v0
	v_cmp_le_i32_e32 vcc, s11, v0
	s_or_b64 s[28:29], vcc, s[28:29]
	s_andn2_b64 exec, exec, s[28:29]
	s_cbranch_execz .LBB64_23
.LBB64_3:                               ; =>This Loop Header: Depth=1
                                        ;     Child Loop BB64_8 Depth 2
                                        ;       Child Loop BB64_11 Depth 3
                                        ;         Child Loop BB64_14 Depth 4
                                        ;           Child Loop BB64_17 Depth 5
	v_sub_u32_e32 v1, 0, v0
	v_max_i32_e32 v2, v0, v1
	v_mul_hi_u32 v1, v2, v18
	v_ashrrev_i32_e32 v4, 31, v0
	v_xor_b32_e32 v5, s58, v4
	s_mov_b64 s[30:31], -1
	v_mul_lo_u32 v3, v1, s23
	v_add_u32_e32 v6, 1, v1
	v_sub_u32_e32 v3, v2, v3
	v_cmp_le_u32_e32 vcc, s23, v3
	v_cndmask_b32_e32 v1, v1, v6, vcc
	v_subrev_u32_e32 v6, s23, v3
	v_cndmask_b32_e32 v3, v3, v6, vcc
	v_add_u32_e32 v6, 1, v1
	v_cmp_le_u32_e32 vcc, s23, v3
	v_cndmask_b32_e32 v1, v1, v6, vcc
	v_xor_b32_e32 v1, v1, v5
	v_sub_u32_e32 v3, v1, v5
	v_sub_u32_e32 v1, 0, v3
	v_max_i32_e32 v6, v3, v1
	v_mul_hi_u32 v1, v6, v19
	v_mul_hi_u32 v5, v2, v20
	v_mul_lo_u32 v7, v3, s12
	v_mul_lo_u32 v8, v1, s56
	;; [unrolled: 1-line block ×3, first 2 shown]
	v_sub_u32_e32 v1, v0, v7
	v_sub_u32_e32 v6, v6, v8
	v_subrev_u32_e32 v7, s56, v6
	v_cmp_le_u32_e32 vcc, s56, v6
	v_sub_u32_e32 v2, v2, v9
	v_cndmask_b32_e32 v6, v6, v7, vcc
	v_subrev_u32_e32 v7, s57, v2
	v_cmp_le_u32_e64 s[0:1], s57, v2
	v_cndmask_b32_e64 v2, v2, v7, s[0:1]
	v_cmp_le_u32_e64 s[4:5], s56, v6
	v_cmp_le_u32_e64 s[2:3], s57, v2
	s_andn2_b64 vcc, exec, s[14:15]
	s_cbranch_vccnz .LBB64_5
; %bb.4:                                ;   in Loop: Header=BB64_3 Depth=1
	v_ashrrev_i32_e32 v2, 31, v1
	s_mov_b64 s[30:31], 0
.LBB64_5:                               ;   in Loop: Header=BB64_3 Depth=1
	v_subrev_u32_e32 v7, s56, v6
	v_ashrrev_i32_e32 v3, 31, v3
	v_cndmask_b32_e64 v6, v6, v7, s[4:5]
	v_xor_b32_e32 v6, v6, v3
	v_sub_u32_e32 v3, v6, v3
	v_add_u32_e32 v6, 1, v5
	v_cndmask_b32_e64 v5, v5, v6, s[0:1]
	v_add_u32_e32 v6, 1, v5
	v_xor_b32_e32 v4, s59, v4
	v_cndmask_b32_e64 v5, v5, v6, s[2:3]
	v_xor_b32_e32 v5, v5, v4
	v_sub_u32_e32 v22, v5, v4
	s_andn2_b64 vcc, exec, s[30:31]
	v_mov_b32_e32 v21, 0
	s_cbranch_vccnz .LBB64_19
; %bb.6:                                ;   in Loop: Header=BB64_3 Depth=1
	v_ashrrev_i32_e32 v2, 31, v1
	v_mov_b32_e32 v4, s7
	v_add_co_u32_e32 v8, vcc, s6, v1
	v_addc_co_u32_e32 v4, vcc, v4, v2, vcc
	v_mul_lo_u32 v9, s66, v4
	v_mov_b32_e32 v4, s26
	v_mov_b32_e32 v5, s27
	v_mul_lo_u32 v6, v22, s18
	v_mul_lo_u32 v7, v3, s19
	;; [unrolled: 1-line block ×3, first 2 shown]
	v_mad_u64_u32 v[4:5], s[0:1], s66, v8, v[4:5]
	v_subrev_u32_e32 v23, s36, v6
	v_subrev_u32_e32 v24, s37, v7
	v_add3_u32 v5, v10, v5, v9
	v_mov_b32_e32 v21, 0
	s_mov_b32 s69, 0
	s_mov_b32 s70, s17
	s_branch .LBB64_8
.LBB64_7:                               ;   in Loop: Header=BB64_8 Depth=2
	s_add_i32 s69, s69, 1
	s_add_i32 s70, s70, s20
	v_mov_b32_e32 v6, s61
	v_add_co_u32_e32 v4, vcc, s60, v4
	s_cmp_eq_u32 s69, s38
	v_addc_co_u32_e32 v5, vcc, v5, v6, vcc
	s_cbranch_scc1 .LBB64_19
.LBB64_8:                               ;   Parent Loop BB64_3 Depth=1
                                        ; =>  This Loop Header: Depth=2
                                        ;       Child Loop BB64_11 Depth 3
                                        ;         Child Loop BB64_14 Depth 4
                                        ;           Child Loop BB64_17 Depth 5
	s_andn2_b64 vcc, exec, s[40:41]
	s_cbranch_vccnz .LBB64_7
; %bb.9:                                ;   in Loop: Header=BB64_8 Depth=2
	s_add_u32 s0, s64, s70
	s_addc_u32 s1, s63, 0
	s_mul_i32 s1, s9, s1
	s_mul_hi_u32 s2, s9, s0
	s_add_i32 s1, s2, s1
	s_mul_i32 s2, s48, s0
	s_mul_i32 s72, s9, s0
	s_mul_i32 s0, s69, s20
	s_add_i32 s71, s1, s2
	s_add_i32 s2, s0, s17
	s_cmp_lt_i32 s2, 0
	s_cselect_b64 s[0:1], -1, 0
	s_cmp_ge_i32 s2, s8
	s_cselect_b64 s[2:3], -1, 0
	v_mov_b32_e32 v7, v5
	s_mov_b32 s73, 0
	s_or_b64 s[2:3], s[0:1], s[2:3]
	v_mov_b32_e32 v6, v4
	v_mov_b32_e32 v25, v23
	s_branch .LBB64_11
.LBB64_10:                              ;   in Loop: Header=BB64_11 Depth=3
	s_add_i32 s73, s73, 1
	v_mov_b32_e32 v8, s67
	v_add_co_u32_e32 v6, vcc, s68, v6
	v_add_u32_e32 v25, s21, v25
	s_cmp_eq_u32 s73, s39
	v_addc_co_u32_e32 v7, vcc, v7, v8, vcc
	s_cbranch_scc1 .LBB64_7
.LBB64_11:                              ;   Parent Loop BB64_3 Depth=1
                                        ;     Parent Loop BB64_8 Depth=2
                                        ; =>    This Loop Header: Depth=3
                                        ;         Child Loop BB64_14 Depth 4
                                        ;           Child Loop BB64_17 Depth 5
	s_andn2_b64 vcc, exec, s[42:43]
	s_cbranch_vccnz .LBB64_10
; %bb.12:                               ;   in Loop: Header=BB64_11 Depth=3
	v_mov_b32_e32 v8, s71
	v_add_co_u32_e32 v9, vcc, s72, v25
	v_addc_co_u32_e32 v8, vcc, 0, v8, vcc
	v_mul_lo_u32 v10, s49, v9
	v_mul_lo_u32 v11, s10, v8
	v_mad_u64_u32 v[8:9], s[0:1], s10, v9, 0
	s_mul_i32 s0, s73, s21
	s_mov_b32 s74, 0
	v_add3_u32 v9, v9, v11, v10
	v_add_u32_e32 v10, s0, v23
	v_cmp_gt_i32_e32 vcc, 0, v10
	v_cmp_le_i32_e64 s[0:1], s9, v10
	s_or_b64 s[0:1], vcc, s[0:1]
	v_mov_b32_e32 v11, v7
	s_or_b64 s[4:5], s[2:3], s[0:1]
	v_mov_b32_e32 v10, v6
	v_mov_b32_e32 v26, v24
	s_branch .LBB64_14
.LBB64_13:                              ;   in Loop: Header=BB64_14 Depth=4
	s_add_i32 s74, s74, 1
	v_mov_b32_e32 v12, s51
	v_add_co_u32_e32 v10, vcc, s65, v10
	v_add_u32_e32 v26, s22, v26
	s_cmp_eq_u32 s74, s34
	v_addc_co_u32_e32 v11, vcc, v11, v12, vcc
	s_cbranch_scc1 .LBB64_10
.LBB64_14:                              ;   Parent Loop BB64_3 Depth=1
                                        ;     Parent Loop BB64_8 Depth=2
                                        ;       Parent Loop BB64_11 Depth=3
                                        ; =>      This Loop Header: Depth=4
                                        ;           Child Loop BB64_17 Depth 5
	s_andn2_b64 vcc, exec, s[44:45]
	s_cbranch_vccnz .LBB64_13
; %bb.15:                               ;   in Loop: Header=BB64_14 Depth=4
	v_add_co_u32_e32 v14, vcc, v8, v26
	v_addc_co_u32_e32 v12, vcc, 0, v9, vcc
	v_mul_lo_u32 v15, s35, v12
	v_mov_b32_e32 v12, s24
	v_mov_b32_e32 v13, s25
	v_mul_lo_u32 v27, s50, v14
	v_mad_u64_u32 v[12:13], s[0:1], s35, v14, v[12:13]
	s_mul_i32 s0, s74, s22
	v_add_u32_e32 v14, s0, v24
	v_cmp_gt_i32_e32 vcc, 0, v14
	v_cmp_le_i32_e64 s[0:1], s10, v14
	v_add3_u32 v13, v27, v13, v15
	s_or_b64 s[0:1], vcc, s[0:1]
	v_mov_b32_e32 v15, v11
	s_nor_b64 s[0:1], s[4:5], s[0:1]
	v_mov_b32_e32 v14, v10
	s_mov_b32 s75, s13
	s_branch .LBB64_17
.LBB64_16:                              ;   in Loop: Header=BB64_17 Depth=5
	s_or_b64 exec, exec, s[30:31]
	v_add_co_u32_e32 v12, vcc, 1, v12
	v_addc_co_u32_e32 v13, vcc, 0, v13, vcc
	s_add_i32 s75, s75, -1
	v_add_co_u32_e32 v14, vcc, 1, v14
	s_cmp_eq_u32 s75, 0
	v_addc_co_u32_e32 v15, vcc, 0, v15, vcc
	s_cbranch_scc1 .LBB64_13
.LBB64_17:                              ;   Parent Loop BB64_3 Depth=1
                                        ;     Parent Loop BB64_8 Depth=2
                                        ;       Parent Loop BB64_11 Depth=3
                                        ;         Parent Loop BB64_14 Depth=4
                                        ; =>        This Inner Loop Header: Depth=5
	s_and_saveexec_b64 s[30:31], s[0:1]
	s_cbranch_execz .LBB64_16
; %bb.18:                               ;   in Loop: Header=BB64_17 Depth=5
	global_load_sbyte v27, v[12:13], off
	global_load_sbyte v28, v[14:15], off
	s_waitcnt vmcnt(0)
	v_mad_i32_i24 v21, v28, v27, v21
	s_branch .LBB64_16
.LBB64_19:                              ;   in Loop: Header=BB64_3 Depth=1
	v_ashrrev_i32_e32 v4, 31, v3
	v_mad_i64_i32 v[3:4], s[0:1], v22, s16, v[3:4]
	s_and_b64 vcc, exec, s[46:47]
	v_mul_lo_u32 v5, v3, s52
	v_mul_lo_u32 v4, v4, s33
	v_mad_u64_u32 v[1:2], s[0:1], v3, s33, v[1:2]
	s_mov_b64 s[0:1], -1
	v_add3_u32 v2, v4, v2, v5
	s_cbranch_vccz .LBB64_21
; %bb.20:                               ;   in Loop: Header=BB64_3 Depth=1
	v_lshlrev_b64 v[3:4], 2, v[1:2]
	v_mov_b32_e32 v5, s54
	v_add_co_u32_e32 v3, vcc, s53, v3
	v_addc_co_u32_e32 v4, vcc, v5, v4, vcc
	global_load_dword v6, v[3:4], off
	v_mul_lo_u32 v5, v21, v16
	s_waitcnt vmcnt(0)
	v_mad_u64_u32 v[5:6], s[0:1], v6, v17, v[5:6]
	s_mov_b64 s[0:1], 0
	global_store_dword v[3:4], v5, off
.LBB64_21:                              ;   in Loop: Header=BB64_3 Depth=1
	s_andn2_b64 vcc, exec, s[0:1]
	s_cbranch_vccnz .LBB64_2
; %bb.22:                               ;   in Loop: Header=BB64_3 Depth=1
	v_lshlrev_b64 v[1:2], 2, v[1:2]
	v_mov_b32_e32 v3, s54
	v_add_co_u32_e32 v1, vcc, s53, v1
	v_addc_co_u32_e32 v2, vcc, v3, v2, vcc
	global_store_dword v[1:2], v21, off
	s_branch .LBB64_2
.LBB64_23:
	s_endpgm
	.section	.rodata,"a",@progbits
	.p2align	6, 0x0
	.amdhsa_kernel naive_conv_ab_packed_fwd_ndhwc_int8_t_int32_t_int32_t
		.amdhsa_group_segment_fixed_size 0
		.amdhsa_private_segment_fixed_size 0
		.amdhsa_kernarg_size 528
		.amdhsa_user_sgpr_count 6
		.amdhsa_user_sgpr_private_segment_buffer 1
		.amdhsa_user_sgpr_dispatch_ptr 0
		.amdhsa_user_sgpr_queue_ptr 0
		.amdhsa_user_sgpr_kernarg_segment_ptr 1
		.amdhsa_user_sgpr_dispatch_id 0
		.amdhsa_user_sgpr_flat_scratch_init 0
		.amdhsa_user_sgpr_private_segment_size 0
		.amdhsa_uses_dynamic_stack 0
		.amdhsa_system_sgpr_private_segment_wavefront_offset 0
		.amdhsa_system_sgpr_workgroup_id_x 1
		.amdhsa_system_sgpr_workgroup_id_y 0
		.amdhsa_system_sgpr_workgroup_id_z 0
		.amdhsa_system_sgpr_workgroup_info 0
		.amdhsa_system_vgpr_workitem_id 0
		.amdhsa_next_free_vgpr 29
		.amdhsa_next_free_sgpr 76
		.amdhsa_reserve_vcc 1
		.amdhsa_reserve_flat_scratch 0
		.amdhsa_float_round_mode_32 0
		.amdhsa_float_round_mode_16_64 0
		.amdhsa_float_denorm_mode_32 3
		.amdhsa_float_denorm_mode_16_64 3
		.amdhsa_dx10_clamp 1
		.amdhsa_ieee_mode 1
		.amdhsa_fp16_overflow 0
		.amdhsa_exception_fp_ieee_invalid_op 0
		.amdhsa_exception_fp_denorm_src 0
		.amdhsa_exception_fp_ieee_div_zero 0
		.amdhsa_exception_fp_ieee_overflow 0
		.amdhsa_exception_fp_ieee_underflow 0
		.amdhsa_exception_fp_ieee_inexact 0
		.amdhsa_exception_int_div_zero 0
	.end_amdhsa_kernel
	.text
.Lfunc_end64:
	.size	naive_conv_ab_packed_fwd_ndhwc_int8_t_int32_t_int32_t, .Lfunc_end64-naive_conv_ab_packed_fwd_ndhwc_int8_t_int32_t_int32_t
                                        ; -- End function
	.set naive_conv_ab_packed_fwd_ndhwc_int8_t_int32_t_int32_t.num_vgpr, 29
	.set naive_conv_ab_packed_fwd_ndhwc_int8_t_int32_t_int32_t.num_agpr, 0
	.set naive_conv_ab_packed_fwd_ndhwc_int8_t_int32_t_int32_t.numbered_sgpr, 76
	.set naive_conv_ab_packed_fwd_ndhwc_int8_t_int32_t_int32_t.num_named_barrier, 0
	.set naive_conv_ab_packed_fwd_ndhwc_int8_t_int32_t_int32_t.private_seg_size, 0
	.set naive_conv_ab_packed_fwd_ndhwc_int8_t_int32_t_int32_t.uses_vcc, 1
	.set naive_conv_ab_packed_fwd_ndhwc_int8_t_int32_t_int32_t.uses_flat_scratch, 0
	.set naive_conv_ab_packed_fwd_ndhwc_int8_t_int32_t_int32_t.has_dyn_sized_stack, 0
	.set naive_conv_ab_packed_fwd_ndhwc_int8_t_int32_t_int32_t.has_recursion, 0
	.set naive_conv_ab_packed_fwd_ndhwc_int8_t_int32_t_int32_t.has_indirect_call, 0
	.section	.AMDGPU.csdata,"",@progbits
; Kernel info:
; codeLenInByte = 1864
; TotalNumSgprs: 80
; NumVgprs: 29
; ScratchSize: 0
; MemoryBound: 0
; FloatMode: 240
; IeeeMode: 1
; LDSByteSize: 0 bytes/workgroup (compile time only)
; SGPRBlocks: 9
; VGPRBlocks: 7
; NumSGPRsForWavesPerEU: 80
; NumVGPRsForWavesPerEU: 29
; Occupancy: 8
; WaveLimiterHint : 1
; COMPUTE_PGM_RSRC2:SCRATCH_EN: 0
; COMPUTE_PGM_RSRC2:USER_SGPR: 6
; COMPUTE_PGM_RSRC2:TRAP_HANDLER: 0
; COMPUTE_PGM_RSRC2:TGID_X_EN: 1
; COMPUTE_PGM_RSRC2:TGID_Y_EN: 0
; COMPUTE_PGM_RSRC2:TGID_Z_EN: 0
; COMPUTE_PGM_RSRC2:TIDIG_COMP_CNT: 0
	.text
	.protected	naive_conv_ab_nonpacked_fwd_ndhwc_int8_t_int32_t_int32_t ; -- Begin function naive_conv_ab_nonpacked_fwd_ndhwc_int8_t_int32_t_int32_t
	.globl	naive_conv_ab_nonpacked_fwd_ndhwc_int8_t_int32_t_int32_t
	.p2align	8
	.type	naive_conv_ab_nonpacked_fwd_ndhwc_int8_t_int32_t_int32_t,@function
naive_conv_ab_nonpacked_fwd_ndhwc_int8_t_int32_t_int32_t: ; @naive_conv_ab_nonpacked_fwd_ndhwc_int8_t_int32_t_int32_t
; %bb.0:
	s_load_dwordx16 s[8:23], s[4:5], 0xb8
	s_abs_i32 s7, s6
	s_waitcnt lgkmcnt(0)
	s_abs_i32 s1, s14
	v_cvt_f32_u32_e32 v1, s1
	s_sub_i32 s2, 0, s1
	s_mul_i32 s0, s14, s11
	s_mul_i32 s75, s16, s12
	v_rcp_iflag_f32_e32 v1, v1
	v_mul_f32_e32 v1, 0x4f7ffffe, v1
	v_cvt_u32_f32_e32 v1, v1
	v_readfirstlane_b32 s3, v1
	s_mul_i32 s2, s2, s3
	s_mul_hi_u32 s2, s3, s2
	s_add_i32 s3, s3, s2
	s_mul_hi_u32 s2, s7, s3
	s_mul_i32 s3, s2, s1
	s_sub_i32 s3, s7, s3
	s_add_i32 s24, s2, 1
	s_sub_i32 s25, s3, s1
	s_cmp_ge_u32 s3, s1
	s_cselect_b32 s2, s24, s2
	s_cselect_b32 s3, s25, s3
	s_add_i32 s24, s2, 1
	s_cmp_ge_u32 s3, s1
	s_cselect_b32 s1, s24, s2
	s_abs_i32 s25, s11
	s_abs_i32 s24, s0
	v_cvt_f32_u32_e32 v1, s25
	v_cvt_f32_u32_e32 v2, s24
	s_mul_i32 s11, s75, s15
	v_cmp_gt_i32_e32 vcc, s11, v0
	v_rcp_iflag_f32_e32 v1, v1
	v_rcp_iflag_f32_e32 v2, v2
	v_mul_f32_e32 v1, 0x4f7ffffe, v1
	v_mul_f32_e32 v2, 0x4f7ffffe, v2
	v_cvt_u32_f32_e32 v1, v1
	v_cvt_u32_f32_e32 v2, v2
	v_readfirstlane_b32 s3, v1
	v_readfirstlane_b32 s2, v2
	s_and_saveexec_b64 s[26:27], vcc
	s_cbranch_execz .LBB65_23
; %bb.1:
	s_ashr_i32 s15, s6, 31
	s_ashr_i32 s26, s14, 31
	s_xor_b32 s26, s15, s26
	s_xor_b32 s1, s1, s26
	s_sub_i32 s26, s1, s26
	s_sub_i32 s1, 0, s25
	s_mul_i32 s1, s1, s3
	s_mul_hi_u32 s1, s3, s1
	s_abs_i32 s28, s26
	s_add_i32 s3, s3, s1
	s_mul_hi_u32 s29, s28, s3
	s_ashr_i32 s30, s0, 31
	s_sub_i32 s0, 0, s24
	s_ashr_i32 s27, s26, 31
	s_mul_i32 s0, s0, s2
	s_mul_i32 s26, s26, s14
	;; [unrolled: 1-line block ×3, first 2 shown]
	s_mul_hi_u32 s0, s2, s0
	s_sub_i32 s26, s6, s26
	s_sub_i32 s6, s28, s29
	s_add_i32 s2, s2, s0
	s_sub_i32 s14, s6, s25
	s_cmp_ge_u32 s6, s25
	s_cselect_b32 s6, s14, s6
	s_sub_i32 s14, s6, s25
	s_mul_hi_u32 s31, s7, s2
	s_cmp_ge_u32 s6, s25
	s_cselect_b32 s6, s14, s6
	s_mul_i32 s14, s31, s24
	s_xor_b32 s6, s6, s27
	s_sub_i32 s7, s7, s14
	s_sub_i32 s78, s6, s27
	s_xor_b32 s6, s15, s30
	s_add_i32 s14, s31, 1
	s_sub_i32 s15, s7, s24
	s_cmp_ge_u32 s7, s24
	s_cselect_b32 s14, s14, s31
	s_cselect_b32 s7, s15, s7
	s_add_i32 s15, s14, 1
	s_load_dwordx16 s[36:51], s[4:5], 0x28
	s_load_dwordx4 s[0:3], s[4:5], 0xa8
	s_cmp_ge_u32 s7, s24
	s_cselect_b32 s7, s15, s14
	s_xor_b32 s7, s7, s6
	s_sub_i32 s79, s7, s6
	s_ashr_i32 s6, s78, 31
	s_waitcnt lgkmcnt(0)
	s_mul_i32 s7, s46, s6
	s_mul_hi_u32 s14, s46, s78
	s_add_i32 s7, s14, s7
	s_mul_i32 s14, s47, s78
	s_add_i32 s80, s7, s14
	s_ashr_i32 s7, s79, 31
	s_mul_i32 s14, s38, s7
	s_mul_hi_u32 s15, s38, s79
	s_add_i32 s14, s15, s14
	s_mul_i32 s15, s39, s79
	s_add_i32 s81, s14, s15
	s_mul_i32 s6, s2, s6
	s_mul_hi_u32 s14, s2, s78
	s_load_dwordx16 s[52:67], s[4:5], 0x68
	s_add_i32 s6, s14, s6
	s_mul_i32 s3, s3, s78
	s_add_i32 s3, s6, s3
	s_ashr_i32 s6, s26, 31
	s_mul_i32 s6, s0, s6
	s_mul_hi_u32 s14, s0, s26
	s_add_i32 s6, s14, s6
	s_mul_i32 s1, s1, s26
	s_add_i32 s1, s6, s1
	s_waitcnt lgkmcnt(0)
	s_mul_i32 s6, s58, s7
	s_mul_hi_u32 s14, s58, s79
	s_add_i32 s6, s14, s6
	s_mul_i32 s14, s59, s79
	s_load_dwordx4 s[68:71], s[4:5], 0xf8
	s_add_i32 s82, s6, s14
	s_mul_i32 s14, s62, s7
	s_load_dwordx2 s[6:7], s[4:5], 0x20
	s_mul_hi_u32 s15, s62, s79
	s_mul_i32 s2, s2, s78
	s_add_i32 s14, s15, s14
	s_mul_i32 s15, s63, s79
	s_add_i32 s15, s14, s15
	s_lshl_b64 s[2:3], s[2:3], 2
	s_mul_i32 s0, s0, s26
	s_waitcnt lgkmcnt(0)
	s_add_u32 s2, s6, s2
	s_addc_u32 s3, s7, s3
	s_lshl_b64 s[0:1], s[0:1], 2
	s_add_u32 s2, s2, s0
	s_mul_i32 s14, s62, s79
	s_addc_u32 s3, s3, s1
	s_lshl_b64 s[0:1], s[14:15], 2
	s_add_u32 s33, s2, s0
	s_load_dword s47, s[4:5], 0x108
	s_addc_u32 s39, s3, s1
	s_cmp_lt_i32 s70, 1
	s_mul_i32 s26, s26, s17
	s_cselect_b64 s[6:7], -1, 0
	s_sub_i32 s23, s26, s23
	s_cmp_gt_i32 s71, 0
	s_load_dword s17, s[4:5], 0x11c
	s_cselect_b64 s[14:15], -1, 0
	s_waitcnt lgkmcnt(0)
	s_cmp_gt_i32 s47, 0
	s_cselect_b64 s[34:35], -1, 0
	s_cmp_gt_i32 s13, 0
	s_load_dwordx8 s[24:31], s[4:5], 0x0
	s_cselect_b64 s[62:63], -1, 0
	s_ashr_i32 s74, s75, 31
	s_abs_i32 s75, s75
	s_abs_i32 s76, s12
	;; [unrolled: 1-line block ×3, first 2 shown]
	v_cvt_f32_u32_e32 v1, s76
	v_cvt_f32_u32_e32 v3, s77
	;; [unrolled: 1-line block ×3, first 2 shown]
	s_waitcnt lgkmcnt(0)
	v_cmp_neq_f64_e64 s[0:1], s[28:29], 1.0
	v_cmp_neq_f64_e64 s[2:3], s[30:31], 0
	v_rcp_iflag_f32_e32 v1, v1
	v_rcp_iflag_f32_e32 v3, v3
	;; [unrolled: 1-line block ×3, first 2 shown]
	s_and_b32 s59, s17, 0xffff
	v_mul_f32_e32 v1, 0x4f7ffffe, v1
	v_mul_f32_e32 v3, 0x4f7ffffe, v3
	;; [unrolled: 1-line block ×3, first 2 shown]
	v_cvt_u32_f32_e32 v1, v1
	v_cvt_u32_f32_e32 v3, v3
	;; [unrolled: 1-line block ×3, first 2 shown]
	s_or_b64 s[72:73], s[0:1], s[2:3]
	s_sub_i32 s1, 0, s76
	s_sub_i32 s2, 0, s77
	;; [unrolled: 1-line block ×3, first 2 shown]
	v_mul_lo_u32 v2, s1, v1
	v_mul_lo_u32 v4, s2, v3
	;; [unrolled: 1-line block ×3, first 2 shown]
	s_mul_i32 s0, s58, s79
	s_ashr_i32 s58, s12, 31
	s_add_u32 s16, s26, s0
	s_addc_u32 s17, s27, s82
	s_mul_i32 s0, s46, s78
	s_mul_i32 s4, s38, s79
	v_mul_hi_u32 v2, v1, v2
	v_mul_hi_u32 v4, v3, v4
	;; [unrolled: 1-line block ×3, first 2 shown]
	s_add_u32 s0, s4, s0
	v_cvt_i32_f64_e32 v13, s[28:29]
	v_cvt_i32_f64_e32 v14, s[30:31]
	s_addc_u32 s4, s81, s80
	s_add_u32 s30, s24, s0
	s_addc_u32 s31, s25, s4
	v_add_u32_e32 v15, v1, v2
	v_add_u32_e32 v16, v3, v4
	;; [unrolled: 1-line block ×3, first 2 shown]
	s_mov_b64 s[24:25], 0
	s_branch .LBB65_3
.LBB65_2:                               ;   in Loop: Header=BB65_3 Depth=1
	v_add_u32_e32 v0, s59, v0
	v_cmp_le_i32_e32 vcc, s11, v0
	s_or_b64 s[24:25], vcc, s[24:25]
	s_andn2_b64 exec, exec, s[24:25]
	s_cbranch_execz .LBB65_23
.LBB65_3:                               ; =>This Loop Header: Depth=1
                                        ;     Child Loop BB65_8 Depth 2
                                        ;       Child Loop BB65_11 Depth 3
                                        ;         Child Loop BB65_14 Depth 4
                                        ;           Child Loop BB65_17 Depth 5
	v_sub_u32_e32 v1, 0, v0
	v_max_i32_e32 v5, v0, v1
	v_mul_hi_u32 v2, v5, v15
	v_ashrrev_i32_e32 v1, 31, v0
	v_xor_b32_e32 v4, s58, v1
	s_mov_b64 s[26:27], -1
	v_mul_lo_u32 v3, v2, s76
	v_add_u32_e32 v6, 1, v2
                                        ; implicit-def: $vgpr19
	v_sub_u32_e32 v3, v5, v3
	v_cmp_le_u32_e32 vcc, s76, v3
	v_cndmask_b32_e32 v2, v2, v6, vcc
	v_subrev_u32_e32 v6, s76, v3
	v_cndmask_b32_e32 v3, v3, v6, vcc
	v_add_u32_e32 v6, 1, v2
	v_cmp_le_u32_e32 vcc, s76, v3
	v_cndmask_b32_e32 v2, v2, v6, vcc
	v_xor_b32_e32 v2, v2, v4
	v_sub_u32_e32 v2, v2, v4
	v_sub_u32_e32 v3, 0, v2
	v_max_i32_e32 v4, v2, v3
	v_mul_hi_u32 v6, v4, v16
	v_mul_hi_u32 v3, v5, v17
	v_mul_lo_u32 v7, v2, s12
	v_mul_lo_u32 v6, v6, s77
	;; [unrolled: 1-line block ×3, first 2 shown]
	v_sub_u32_e32 v18, v0, v7
	v_sub_u32_e32 v4, v4, v6
	v_subrev_u32_e32 v6, s77, v4
	v_cmp_le_u32_e32 vcc, s77, v4
	v_sub_u32_e32 v5, v5, v8
	v_cndmask_b32_e32 v4, v4, v6, vcc
	v_subrev_u32_e32 v6, s75, v5
	v_cmp_le_u32_e64 s[0:1], s75, v5
	v_cndmask_b32_e64 v5, v5, v6, s[0:1]
	v_cmp_le_u32_e64 s[4:5], s77, v4
	v_cmp_le_u32_e64 s[2:3], s75, v5
	s_andn2_b64 vcc, exec, s[6:7]
	s_cbranch_vccnz .LBB65_5
; %bb.4:                                ;   in Loop: Header=BB65_3 Depth=1
	v_ashrrev_i32_e32 v19, 31, v18
	s_mov_b64 s[26:27], 0
.LBB65_5:                               ;   in Loop: Header=BB65_3 Depth=1
	v_subrev_u32_e32 v5, s77, v4
	v_ashrrev_i32_e32 v2, 31, v2
	v_cndmask_b32_e64 v4, v4, v5, s[4:5]
	v_xor_b32_e32 v4, v4, v2
	v_sub_u32_e32 v21, v4, v2
	v_add_u32_e32 v2, 1, v3
	v_cndmask_b32_e64 v2, v3, v2, s[0:1]
	v_add_u32_e32 v3, 1, v2
	v_xor_b32_e32 v1, s74, v1
	v_cndmask_b32_e64 v2, v2, v3, s[2:3]
	v_xor_b32_e32 v2, v2, v1
	v_sub_u32_e32 v22, v2, v1
	s_andn2_b64 vcc, exec, s[26:27]
	v_mov_b32_e32 v20, 0
	s_cbranch_vccnz .LBB65_19
; %bb.6:                                ;   in Loop: Header=BB65_3 Depth=1
	v_mov_b32_e32 v1, s16
	v_ashrrev_i32_e32 v19, 31, v18
	v_mov_b32_e32 v2, s17
	v_mul_lo_u32 v3, v22, s18
	v_mul_lo_u32 v4, v21, s19
	v_mad_u64_u32 v[1:2], s[0:1], s56, v18, v[1:2]
	v_mul_lo_u32 v5, s57, v18
	v_mul_lo_u32 v6, s56, v19
	v_subrev_u32_e32 v23, s68, v3
	v_subrev_u32_e32 v24, s69, v4
	v_mov_b32_e32 v20, 0
	v_add3_u32 v2, v5, v2, v6
	s_mov_b32 s38, 0
	s_mov_b32 s46, s23
	s_branch .LBB65_8
.LBB65_7:                               ;   in Loop: Header=BB65_8 Depth=2
	s_add_i32 s38, s38, 1
	v_mov_b32_e32 v3, s55
	s_add_i32 s46, s46, s20
	v_add_co_u32_e32 v1, vcc, s54, v1
	s_cmp_eq_u32 s38, s70
	v_addc_co_u32_e32 v2, vcc, v2, v3, vcc
	s_cbranch_scc1 .LBB65_19
.LBB65_8:                               ;   Parent Loop BB65_3 Depth=1
                                        ; =>  This Loop Header: Depth=2
                                        ;       Child Loop BB65_11 Depth 3
                                        ;         Child Loop BB65_14 Depth 4
                                        ;           Child Loop BB65_17 Depth 5
	s_andn2_b64 vcc, exec, s[14:15]
	s_cbranch_vccnz .LBB65_7
; %bb.9:                                ;   in Loop: Header=BB65_8 Depth=2
	s_mul_i32 s0, s45, s46
	s_mul_hi_u32 s1, s44, s46
	s_add_i32 s5, s1, s0
	s_mul_i32 s0, s38, s20
	s_add_i32 s2, s0, s23
	s_cmp_lt_i32 s2, 0
	s_cselect_b64 s[0:1], -1, 0
	s_cmp_ge_i32 s2, s8
	s_cselect_b64 s[2:3], -1, 0
	s_mul_i32 s4, s44, s46
	s_or_b64 s[2:3], s[0:1], s[2:3]
	s_add_u32 s4, s30, s4
	v_mov_b32_e32 v4, v2
	s_mov_b32 s78, 0
	s_addc_u32 s5, s31, s5
	v_mov_b32_e32 v25, v23
	v_mov_b32_e32 v3, v1
	s_branch .LBB65_11
.LBB65_10:                              ;   in Loop: Header=BB65_11 Depth=3
	s_add_i32 s78, s78, 1
	v_mov_b32_e32 v5, s53
	v_add_co_u32_e32 v3, vcc, s52, v3
	v_addc_co_u32_e32 v4, vcc, v4, v5, vcc
	s_cmp_eq_u32 s78, s71
	v_add_u32_e32 v25, s21, v25
	s_cbranch_scc1 .LBB65_7
.LBB65_11:                              ;   Parent Loop BB65_3 Depth=1
                                        ;     Parent Loop BB65_8 Depth=2
                                        ; =>    This Loop Header: Depth=3
                                        ;         Child Loop BB65_14 Depth 4
                                        ;           Child Loop BB65_17 Depth 5
	s_andn2_b64 vcc, exec, s[34:35]
	s_cbranch_vccnz .LBB65_10
; %bb.12:                               ;   in Loop: Header=BB65_11 Depth=3
	v_mov_b32_e32 v6, s5
	v_mov_b32_e32 v5, s4
	v_mad_u64_u32 v[5:6], s[0:1], s42, v25, v[5:6]
	s_mul_i32 s26, s78, s21
	v_add_u32_e32 v8, s26, v23
	v_mad_u64_u32 v[6:7], s[0:1], s43, v25, v[6:7]
	v_cmp_gt_i32_e32 vcc, 0, v8
	v_cmp_le_i32_e64 s[0:1], s9, v8
	s_or_b64 s[0:1], vcc, s[0:1]
	v_mov_b32_e32 v8, v4
	s_mov_b32 s79, 0
	s_or_b64 s[26:27], s[2:3], s[0:1]
	v_mov_b32_e32 v26, v24
	v_mov_b32_e32 v7, v3
	s_branch .LBB65_14
.LBB65_13:                              ;   in Loop: Header=BB65_14 Depth=4
	s_add_i32 s79, s79, 1
	v_mov_b32_e32 v9, s51
	v_add_co_u32_e32 v7, vcc, s50, v7
	v_addc_co_u32_e32 v8, vcc, v8, v9, vcc
	s_cmp_eq_u32 s79, s47
	v_add_u32_e32 v26, s22, v26
	s_cbranch_scc1 .LBB65_10
.LBB65_14:                              ;   Parent Loop BB65_3 Depth=1
                                        ;     Parent Loop BB65_8 Depth=2
                                        ;       Parent Loop BB65_11 Depth=3
                                        ; =>      This Loop Header: Depth=4
                                        ;           Child Loop BB65_17 Depth 5
	s_andn2_b64 vcc, exec, s[62:63]
	s_cbranch_vccnz .LBB65_13
; %bb.15:                               ;   in Loop: Header=BB65_14 Depth=4
	v_mad_u64_u32 v[9:10], s[0:1], s40, v26, v[5:6]
	s_mul_i32 s28, s79, s22
	s_mov_b32 s80, s13
	v_mad_u64_u32 v[10:11], s[0:1], s41, v26, v[10:11]
	v_add_u32_e32 v11, s28, v24
	v_cmp_gt_i32_e32 vcc, 0, v11
	v_cmp_le_i32_e64 s[0:1], s10, v11
	s_or_b64 s[0:1], vcc, s[0:1]
	v_mov_b32_e32 v12, v8
	s_nor_b64 s[0:1], s[26:27], s[0:1]
	v_mov_b32_e32 v11, v7
	s_branch .LBB65_17
.LBB65_16:                              ;   in Loop: Header=BB65_17 Depth=5
	s_or_b64 exec, exec, s[28:29]
	v_mov_b32_e32 v27, s49
	v_add_co_u32_e32 v11, vcc, s48, v11
	v_addc_co_u32_e32 v12, vcc, v12, v27, vcc
	s_add_i32 s80, s80, -1
	v_mov_b32_e32 v27, s37
	v_add_co_u32_e32 v9, vcc, s36, v9
	s_cmp_eq_u32 s80, 0
	v_addc_co_u32_e32 v10, vcc, v10, v27, vcc
	s_cbranch_scc1 .LBB65_13
.LBB65_17:                              ;   Parent Loop BB65_3 Depth=1
                                        ;     Parent Loop BB65_8 Depth=2
                                        ;       Parent Loop BB65_11 Depth=3
                                        ;         Parent Loop BB65_14 Depth=4
                                        ; =>        This Inner Loop Header: Depth=5
	s_and_saveexec_b64 s[28:29], s[0:1]
	s_cbranch_execz .LBB65_16
; %bb.18:                               ;   in Loop: Header=BB65_17 Depth=5
	global_load_sbyte v27, v[9:10], off
	global_load_sbyte v28, v[11:12], off
	s_waitcnt vmcnt(0)
	v_mad_i32_i24 v20, v28, v27, v20
	s_branch .LBB65_16
.LBB65_19:                              ;   in Loop: Header=BB65_3 Depth=1
	v_ashrrev_i32_e32 v1, 31, v21
	v_mul_lo_u32 v3, s65, v21
	v_mul_lo_u32 v4, s64, v1
	v_mad_u64_u32 v[1:2], s[0:1], s64, v21, 0
	v_ashrrev_i32_e32 v5, 31, v22
	s_and_b64 vcc, exec, s[72:73]
	v_add3_u32 v2, v2, v4, v3
	v_mad_u64_u32 v[1:2], s[0:1], s66, v22, v[1:2]
	v_mul_lo_u32 v3, s67, v22
	v_mul_lo_u32 v4, s66, v5
	v_add3_u32 v2, v3, v2, v4
	v_mad_u64_u32 v[1:2], s[0:1], v18, s60, v[1:2]
	v_mul_lo_u32 v3, v18, s61
	v_mul_lo_u32 v4, v19, s60
	s_mov_b64 s[0:1], -1
	v_add3_u32 v2, v4, v2, v3
	s_cbranch_vccz .LBB65_21
; %bb.20:                               ;   in Loop: Header=BB65_3 Depth=1
	v_lshlrev_b64 v[3:4], 2, v[1:2]
	v_mov_b32_e32 v5, s39
	v_add_co_u32_e32 v3, vcc, s33, v3
	v_addc_co_u32_e32 v4, vcc, v5, v4, vcc
	global_load_dword v6, v[3:4], off
	v_mul_lo_u32 v5, v20, v13
	s_waitcnt vmcnt(0)
	v_mad_u64_u32 v[5:6], s[0:1], v6, v14, v[5:6]
	s_mov_b64 s[0:1], 0
	global_store_dword v[3:4], v5, off
.LBB65_21:                              ;   in Loop: Header=BB65_3 Depth=1
	s_andn2_b64 vcc, exec, s[0:1]
	s_cbranch_vccnz .LBB65_2
; %bb.22:                               ;   in Loop: Header=BB65_3 Depth=1
	v_lshlrev_b64 v[1:2], 2, v[1:2]
	v_mov_b32_e32 v3, s39
	v_add_co_u32_e32 v1, vcc, s33, v1
	v_addc_co_u32_e32 v2, vcc, v3, v2, vcc
	global_store_dword v[1:2], v20, off
	s_branch .LBB65_2
.LBB65_23:
	s_endpgm
	.section	.rodata,"a",@progbits
	.p2align	6, 0x0
	.amdhsa_kernel naive_conv_ab_nonpacked_fwd_ndhwc_int8_t_int32_t_int32_t
		.amdhsa_group_segment_fixed_size 0
		.amdhsa_private_segment_fixed_size 0
		.amdhsa_kernarg_size 528
		.amdhsa_user_sgpr_count 6
		.amdhsa_user_sgpr_private_segment_buffer 1
		.amdhsa_user_sgpr_dispatch_ptr 0
		.amdhsa_user_sgpr_queue_ptr 0
		.amdhsa_user_sgpr_kernarg_segment_ptr 1
		.amdhsa_user_sgpr_dispatch_id 0
		.amdhsa_user_sgpr_flat_scratch_init 0
		.amdhsa_user_sgpr_private_segment_size 0
		.amdhsa_uses_dynamic_stack 0
		.amdhsa_system_sgpr_private_segment_wavefront_offset 0
		.amdhsa_system_sgpr_workgroup_id_x 1
		.amdhsa_system_sgpr_workgroup_id_y 0
		.amdhsa_system_sgpr_workgroup_id_z 0
		.amdhsa_system_sgpr_workgroup_info 0
		.amdhsa_system_vgpr_workitem_id 0
		.amdhsa_next_free_vgpr 29
		.amdhsa_next_free_sgpr 83
		.amdhsa_reserve_vcc 1
		.amdhsa_reserve_flat_scratch 0
		.amdhsa_float_round_mode_32 0
		.amdhsa_float_round_mode_16_64 0
		.amdhsa_float_denorm_mode_32 3
		.amdhsa_float_denorm_mode_16_64 3
		.amdhsa_dx10_clamp 1
		.amdhsa_ieee_mode 1
		.amdhsa_fp16_overflow 0
		.amdhsa_exception_fp_ieee_invalid_op 0
		.amdhsa_exception_fp_denorm_src 0
		.amdhsa_exception_fp_ieee_div_zero 0
		.amdhsa_exception_fp_ieee_overflow 0
		.amdhsa_exception_fp_ieee_underflow 0
		.amdhsa_exception_fp_ieee_inexact 0
		.amdhsa_exception_int_div_zero 0
	.end_amdhsa_kernel
	.text
.Lfunc_end65:
	.size	naive_conv_ab_nonpacked_fwd_ndhwc_int8_t_int32_t_int32_t, .Lfunc_end65-naive_conv_ab_nonpacked_fwd_ndhwc_int8_t_int32_t_int32_t
                                        ; -- End function
	.set naive_conv_ab_nonpacked_fwd_ndhwc_int8_t_int32_t_int32_t.num_vgpr, 29
	.set naive_conv_ab_nonpacked_fwd_ndhwc_int8_t_int32_t_int32_t.num_agpr, 0
	.set naive_conv_ab_nonpacked_fwd_ndhwc_int8_t_int32_t_int32_t.numbered_sgpr, 83
	.set naive_conv_ab_nonpacked_fwd_ndhwc_int8_t_int32_t_int32_t.num_named_barrier, 0
	.set naive_conv_ab_nonpacked_fwd_ndhwc_int8_t_int32_t_int32_t.private_seg_size, 0
	.set naive_conv_ab_nonpacked_fwd_ndhwc_int8_t_int32_t_int32_t.uses_vcc, 1
	.set naive_conv_ab_nonpacked_fwd_ndhwc_int8_t_int32_t_int32_t.uses_flat_scratch, 0
	.set naive_conv_ab_nonpacked_fwd_ndhwc_int8_t_int32_t_int32_t.has_dyn_sized_stack, 0
	.set naive_conv_ab_nonpacked_fwd_ndhwc_int8_t_int32_t_int32_t.has_recursion, 0
	.set naive_conv_ab_nonpacked_fwd_ndhwc_int8_t_int32_t_int32_t.has_indirect_call, 0
	.section	.AMDGPU.csdata,"",@progbits
; Kernel info:
; codeLenInByte = 1884
; TotalNumSgprs: 87
; NumVgprs: 29
; ScratchSize: 0
; MemoryBound: 0
; FloatMode: 240
; IeeeMode: 1
; LDSByteSize: 0 bytes/workgroup (compile time only)
; SGPRBlocks: 10
; VGPRBlocks: 7
; NumSGPRsForWavesPerEU: 87
; NumVGPRsForWavesPerEU: 29
; Occupancy: 8
; WaveLimiterHint : 1
; COMPUTE_PGM_RSRC2:SCRATCH_EN: 0
; COMPUTE_PGM_RSRC2:USER_SGPR: 6
; COMPUTE_PGM_RSRC2:TRAP_HANDLER: 0
; COMPUTE_PGM_RSRC2:TGID_X_EN: 1
; COMPUTE_PGM_RSRC2:TGID_Y_EN: 0
; COMPUTE_PGM_RSRC2:TGID_Z_EN: 0
; COMPUTE_PGM_RSRC2:TIDIG_COMP_CNT: 0
	.text
	.protected	naive_conv_ab_packed_fwd_ndhwc_int8_t_int32_t_float ; -- Begin function naive_conv_ab_packed_fwd_ndhwc_int8_t_int32_t_float
	.globl	naive_conv_ab_packed_fwd_ndhwc_int8_t_int32_t_float
	.p2align	8
	.type	naive_conv_ab_packed_fwd_ndhwc_int8_t_int32_t_float,@function
naive_conv_ab_packed_fwd_ndhwc_int8_t_int32_t_float: ; @naive_conv_ab_packed_fwd_ndhwc_int8_t_int32_t_float
; %bb.0:
	s_load_dwordx16 s[8:23], s[4:5], 0xb8
	s_abs_i32 s3, s6
	s_waitcnt lgkmcnt(0)
	s_abs_i32 s1, s14
	v_cvt_f32_u32_e32 v1, s1
	s_sub_i32 s2, 0, s1
	s_mul_i32 s0, s14, s11
	v_rcp_iflag_f32_e32 v1, v1
	v_mul_f32_e32 v1, 0x4f7ffffe, v1
	v_cvt_u32_f32_e32 v1, v1
	v_readfirstlane_b32 s7, v1
	s_mul_i32 s2, s2, s7
	s_mul_hi_u32 s2, s7, s2
	s_add_i32 s7, s7, s2
	s_mul_hi_u32 s2, s3, s7
	s_mul_i32 s7, s2, s1
	s_sub_i32 s7, s3, s7
	s_add_i32 s24, s2, 1
	s_sub_i32 s25, s7, s1
	s_cmp_ge_u32 s7, s1
	s_cselect_b32 s2, s24, s2
	s_cselect_b32 s7, s25, s7
	s_add_i32 s24, s2, 1
	s_cmp_ge_u32 s7, s1
	s_cselect_b32 s1, s24, s2
	s_abs_i32 s40, s11
	s_abs_i32 s7, s0
	v_cvt_f32_u32_e32 v1, s40
	v_cvt_f32_u32_e32 v2, s7
	s_mul_i32 s2, s16, s12
	s_mul_i32 s11, s2, s15
	v_rcp_iflag_f32_e32 v1, v1
	v_rcp_iflag_f32_e32 v2, v2
	v_cmp_gt_i32_e32 vcc, s11, v0
	v_mul_f32_e32 v1, 0x4f7ffffe, v1
	v_mul_f32_e32 v2, 0x4f7ffffe, v2
	v_cvt_u32_f32_e32 v1, v1
	v_cvt_u32_f32_e32 v2, v2
	v_readfirstlane_b32 s34, v1
	v_readfirstlane_b32 s33, v2
	s_and_saveexec_b64 s[24:25], vcc
	s_cbranch_execz .LBB66_21
; %bb.1:
	s_ashr_i32 s41, s6, 31
	s_ashr_i32 s35, s14, 31
	s_xor_b32 s35, s41, s35
	s_xor_b32 s1, s1, s35
	s_sub_i32 s42, s1, s35
	s_sub_i32 s1, 0, s40
	s_mul_i32 s1, s1, s34
	s_mul_hi_u32 s1, s34, s1
	s_abs_i32 s44, s42
	s_add_i32 s34, s34, s1
	s_ashr_i32 s46, s0, 31
	s_sub_i32 s0, 0, s7
	s_mul_hi_u32 s45, s44, s34
	s_mul_i32 s0, s0, s33
	s_mul_hi_u32 s0, s33, s0
	s_mul_i32 s45, s45, s40
	s_load_dwordx8 s[24:31], s[4:5], 0x0
	s_ashr_i32 s43, s42, 31
	s_add_i32 s33, s33, s0
	s_load_dwordx2 s[34:35], s[4:5], 0x108
	s_load_dwordx2 s[0:1], s[4:5], 0x20
	s_load_dwordx4 s[36:39], s[4:5], 0xf8
	s_load_dword s55, s[4:5], 0x11c
	s_mul_i32 s42, s42, s14
	s_sub_i32 s4, s44, s45
	s_sub_i32 s42, s6, s42
	;; [unrolled: 1-line block ×3, first 2 shown]
	s_cmp_ge_u32 s4, s40
	s_cselect_b32 s4, s5, s4
	s_sub_i32 s5, s4, s40
	s_mul_hi_u32 s47, s3, s33
	s_cmp_ge_u32 s4, s40
	s_cselect_b32 s4, s5, s4
	s_mul_i32 s5, s47, s7
	s_xor_b32 s4, s4, s43
	s_sub_i32 s3, s3, s5
	s_sub_i32 s64, s4, s43
	s_xor_b32 s4, s41, s46
	s_add_i32 s5, s47, 1
	s_sub_i32 s6, s3, s7
	s_cmp_ge_u32 s3, s7
	s_cselect_b32 s5, s5, s47
	s_cselect_b32 s3, s6, s3
	s_add_i32 s6, s5, 1
	s_cmp_ge_u32 s3, s7
	s_cselect_b32 s3, s6, s5
	s_waitcnt lgkmcnt(0)
	s_mul_i32 s33, s35, s12
	s_mul_i32 s35, s35, s13
	s_xor_b32 s3, s3, s4
	s_sub_i32 s3, s3, s4
	s_ashr_i32 s48, s9, 31
	s_ashr_i32 s49, s10, 31
	;; [unrolled: 1-line block ×5, first 2 shown]
	s_mul_hi_i32 s4, s64, s14
	s_mul_i32 s5, s64, s14
	s_ashr_i32 s52, s33, 31
	s_ashr_i32 s14, s42, 31
	s_add_u32 s40, s5, s42
	s_addc_u32 s4, s4, s14
	s_mul_i32 s14, s16, s15
	s_mul_hi_i32 s5, s16, s15
	s_mul_hi_u32 s15, s14, s33
	s_mul_i32 s41, s14, s52
	s_add_i32 s15, s15, s41
	s_mul_i32 s5, s5, s33
	s_mul_i32 s14, s14, s33
	s_add_i32 s5, s15, s5
	s_mul_i32 s4, s14, s4
	s_mul_hi_u32 s15, s14, s40
	s_add_i32 s4, s15, s4
	s_mul_i32 s5, s5, s40
	s_add_i32 s5, s4, s5
	s_mul_i32 s4, s14, s40
	s_lshl_b64 s[4:5], s[4:5], 2
	s_mul_hi_i32 s7, s3, s12
	s_mul_i32 s6, s3, s12
	s_add_u32 s4, s0, s4
	s_addc_u32 s5, s1, s5
	s_lshl_b64 s[0:1], s[6:7], 2
	s_add_u32 s53, s4, s0
	s_addc_u32 s54, s5, s1
	s_cmp_lt_i32 s38, 1
	s_mul_i32 s42, s42, s17
	s_cselect_b64 s[14:15], -1, 0
	s_sub_i32 s17, s42, s23
	s_cmp_gt_i32 s39, 0
	s_cselect_b64 s[40:41], -1, 0
	s_cmp_gt_i32 s34, 0
	s_cselect_b64 s[42:43], -1, 0
	;; [unrolled: 2-line block ×3, first 2 shown]
	s_abs_i32 s23, s12
	v_cvt_f32_u32_e32 v1, s23
	s_abs_i32 s56, s16
	v_cvt_f32_u32_e32 v2, s56
	;; [unrolled: 2-line block ×3, first 2 shown]
	v_cmp_neq_f64_e64 s[0:1], s[28:29], 1.0
	v_cmp_neq_f64_e64 s[4:5], s[30:31], 0
	v_rcp_iflag_f32_e32 v1, v1
	v_rcp_iflag_f32_e32 v2, v2
	v_rcp_iflag_f32_e32 v3, v3
	s_and_b32 s55, s55, 0xffff
	v_mul_f32_e32 v1, 0x4f7ffffe, v1
	v_cvt_u32_f32_e32 v1, v1
	v_mul_f32_e32 v2, 0x4f7ffffe, v2
	v_cvt_u32_f32_e32 v2, v2
	v_mul_f32_e32 v3, 0x4f7ffffe, v3
	s_or_b64 s[46:47], s[0:1], s[4:5]
	s_sub_i32 s1, 0, s23
	v_cvt_u32_f32_e32 v3, v3
	v_mul_lo_u32 v4, s1, v1
	s_sub_i32 s1, 0, s56
	s_mul_hi_i32 s0, s3, s13
	s_mul_i32 s3, s3, s13
	v_mul_lo_u32 v5, s1, v2
	s_sub_i32 s1, 0, s57
	s_ashr_i32 s58, s12, 31
	s_ashr_i32 s59, s2, 31
	s_add_u32 s24, s24, s3
	v_mul_lo_u32 v6, s1, v3
	s_addc_u32 s25, s25, s0
	s_mul_i32 s0, s34, s39
	s_mul_i32 s60, s0, s13
	s_mul_i32 s1, s60, s61
	s_mul_hi_u32 s2, s60, s38
	s_add_i32 s1, s2, s1
	s_mul_i32 s2, s0, s51
	s_mul_hi_u32 s0, s0, s13
	s_add_i32 s0, s0, s2
	s_mul_hi_i32 s2, s34, s39
	v_mul_hi_u32 v4, v1, v4
	v_mul_hi_u32 v5, v2, v5
	;; [unrolled: 1-line block ×3, first 2 shown]
	s_mul_i32 s2, s2, s13
	v_cvt_i32_f64_e32 v17, s[28:29]
	v_cvt_i32_f64_e32 v18, s[30:31]
	s_add_i32 s61, s0, s2
	s_mul_i32 s0, s61, s38
	s_add_i32 s62, s1, s0
	v_add_u32_e32 v19, v1, v4
	v_add_u32_e32 v20, v2, v5
	;; [unrolled: 1-line block ×3, first 2 shown]
	s_mul_hi_i32 s63, s8, s64
	s_mul_i32 s64, s8, s64
	s_mov_b32 s65, s13
	s_mul_i32 s66, s60, s38
	s_mul_hi_i32 s67, s34, s13
	s_mul_i32 s68, s34, s13
	s_mov_b64 s[28:29], 0
	s_branch .LBB66_3
.LBB66_2:                               ;   in Loop: Header=BB66_3 Depth=1
	v_cvt_f32_i32_e32 v3, v3
	v_add_u32_e32 v0, s55, v0
	v_cmp_le_i32_e32 vcc, s11, v0
	s_or_b64 s[28:29], vcc, s[28:29]
	global_store_dword v[1:2], v3, off
	s_andn2_b64 exec, exec, s[28:29]
	s_cbranch_execz .LBB66_21
.LBB66_3:                               ; =>This Loop Header: Depth=1
                                        ;     Child Loop BB66_8 Depth 2
                                        ;       Child Loop BB66_11 Depth 3
                                        ;         Child Loop BB66_14 Depth 4
                                        ;           Child Loop BB66_17 Depth 5
	v_sub_u32_e32 v1, 0, v0
	v_max_i32_e32 v2, v0, v1
	v_mul_hi_u32 v1, v2, v19
	v_ashrrev_i32_e32 v3, 31, v0
	v_xor_b32_e32 v5, s58, v3
	s_mov_b64 s[30:31], -1
	v_mul_lo_u32 v4, v1, s23
	v_add_u32_e32 v6, 1, v1
	v_sub_u32_e32 v4, v2, v4
	v_cmp_le_u32_e32 vcc, s23, v4
	v_cndmask_b32_e32 v1, v1, v6, vcc
	v_subrev_u32_e32 v6, s23, v4
	v_cndmask_b32_e32 v4, v4, v6, vcc
	v_add_u32_e32 v6, 1, v1
	v_cmp_le_u32_e32 vcc, s23, v4
	v_cndmask_b32_e32 v1, v1, v6, vcc
	v_xor_b32_e32 v1, v1, v5
	v_sub_u32_e32 v4, v1, v5
	v_sub_u32_e32 v1, 0, v4
	v_max_i32_e32 v6, v4, v1
	v_mul_hi_u32 v1, v6, v20
	v_mul_hi_u32 v5, v2, v21
	v_mul_lo_u32 v7, v4, s12
	v_mul_lo_u32 v8, v1, s56
	;; [unrolled: 1-line block ×3, first 2 shown]
	v_sub_u32_e32 v1, v0, v7
	v_sub_u32_e32 v6, v6, v8
	v_subrev_u32_e32 v7, s56, v6
	v_cmp_le_u32_e32 vcc, s56, v6
	v_sub_u32_e32 v2, v2, v9
	v_cndmask_b32_e32 v6, v6, v7, vcc
	v_subrev_u32_e32 v7, s57, v2
	v_cmp_le_u32_e64 s[0:1], s57, v2
	v_cndmask_b32_e64 v2, v2, v7, s[0:1]
	v_cmp_le_u32_e64 s[4:5], s56, v6
	v_cmp_le_u32_e64 s[2:3], s57, v2
	s_andn2_b64 vcc, exec, s[14:15]
	s_cbranch_vccnz .LBB66_5
; %bb.4:                                ;   in Loop: Header=BB66_3 Depth=1
	v_ashrrev_i32_e32 v2, 31, v1
	s_mov_b64 s[30:31], 0
.LBB66_5:                               ;   in Loop: Header=BB66_3 Depth=1
	v_subrev_u32_e32 v7, s56, v6
	v_ashrrev_i32_e32 v4, 31, v4
	v_cndmask_b32_e64 v6, v6, v7, s[4:5]
	v_xor_b32_e32 v6, v6, v4
	v_sub_u32_e32 v4, v6, v4
	v_add_u32_e32 v6, 1, v5
	v_cndmask_b32_e64 v5, v5, v6, s[0:1]
	v_add_u32_e32 v6, 1, v5
	v_xor_b32_e32 v3, s59, v3
	v_cndmask_b32_e64 v5, v5, v6, s[2:3]
	v_xor_b32_e32 v5, v5, v3
	v_sub_u32_e32 v22, v5, v3
	s_andn2_b64 vcc, exec, s[30:31]
	v_mov_b32_e32 v3, 0
	s_cbranch_vccnz .LBB66_19
; %bb.6:                                ;   in Loop: Header=BB66_3 Depth=1
	v_ashrrev_i32_e32 v2, 31, v1
	v_mov_b32_e32 v5, s7
	v_add_co_u32_e32 v8, vcc, s6, v1
	v_addc_co_u32_e32 v5, vcc, v5, v2, vcc
	v_mul_lo_u32 v9, s66, v5
	v_mov_b32_e32 v5, s26
	v_mov_b32_e32 v6, s27
	v_mul_lo_u32 v3, v22, s18
	v_mul_lo_u32 v7, v4, s19
	;; [unrolled: 1-line block ×3, first 2 shown]
	v_mad_u64_u32 v[5:6], s[0:1], s66, v8, v[5:6]
	v_subrev_u32_e32 v23, s36, v3
	v_subrev_u32_e32 v24, s37, v7
	v_add3_u32 v6, v10, v6, v9
	v_mov_b32_e32 v3, 0
	s_mov_b32 s69, 0
	s_mov_b32 s70, s17
	s_branch .LBB66_8
.LBB66_7:                               ;   in Loop: Header=BB66_8 Depth=2
	s_add_i32 s69, s69, 1
	s_add_i32 s70, s70, s20
	v_mov_b32_e32 v7, s61
	v_add_co_u32_e32 v5, vcc, s60, v5
	s_cmp_eq_u32 s69, s38
	v_addc_co_u32_e32 v6, vcc, v6, v7, vcc
	s_cbranch_scc1 .LBB66_19
.LBB66_8:                               ;   Parent Loop BB66_3 Depth=1
                                        ; =>  This Loop Header: Depth=2
                                        ;       Child Loop BB66_11 Depth 3
                                        ;         Child Loop BB66_14 Depth 4
                                        ;           Child Loop BB66_17 Depth 5
	s_andn2_b64 vcc, exec, s[40:41]
	s_cbranch_vccnz .LBB66_7
; %bb.9:                                ;   in Loop: Header=BB66_8 Depth=2
	s_add_u32 s0, s64, s70
	s_addc_u32 s1, s63, 0
	s_mul_i32 s1, s9, s1
	s_mul_hi_u32 s2, s9, s0
	s_add_i32 s1, s2, s1
	s_mul_i32 s2, s48, s0
	s_mul_i32 s72, s9, s0
	;; [unrolled: 1-line block ×3, first 2 shown]
	s_add_i32 s71, s1, s2
	s_add_i32 s2, s0, s17
	s_cmp_lt_i32 s2, 0
	s_cselect_b64 s[0:1], -1, 0
	s_cmp_ge_i32 s2, s8
	s_cselect_b64 s[2:3], -1, 0
	v_mov_b32_e32 v8, v6
	s_mov_b32 s73, 0
	s_or_b64 s[2:3], s[0:1], s[2:3]
	v_mov_b32_e32 v7, v5
	v_mov_b32_e32 v25, v23
	s_branch .LBB66_11
.LBB66_10:                              ;   in Loop: Header=BB66_11 Depth=3
	s_add_i32 s73, s73, 1
	v_mov_b32_e32 v9, s67
	v_add_co_u32_e32 v7, vcc, s68, v7
	v_add_u32_e32 v25, s21, v25
	s_cmp_eq_u32 s73, s39
	v_addc_co_u32_e32 v8, vcc, v8, v9, vcc
	s_cbranch_scc1 .LBB66_7
.LBB66_11:                              ;   Parent Loop BB66_3 Depth=1
                                        ;     Parent Loop BB66_8 Depth=2
                                        ; =>    This Loop Header: Depth=3
                                        ;         Child Loop BB66_14 Depth 4
                                        ;           Child Loop BB66_17 Depth 5
	s_andn2_b64 vcc, exec, s[42:43]
	s_cbranch_vccnz .LBB66_10
; %bb.12:                               ;   in Loop: Header=BB66_11 Depth=3
	v_mov_b32_e32 v9, s71
	v_add_co_u32_e32 v10, vcc, s72, v25
	v_addc_co_u32_e32 v9, vcc, 0, v9, vcc
	v_mul_lo_u32 v11, s49, v10
	v_mul_lo_u32 v12, s10, v9
	v_mad_u64_u32 v[9:10], s[0:1], s10, v10, 0
	s_mul_i32 s0, s73, s21
	s_mov_b32 s74, 0
	v_add3_u32 v10, v10, v12, v11
	v_add_u32_e32 v11, s0, v23
	v_cmp_gt_i32_e32 vcc, 0, v11
	v_cmp_le_i32_e64 s[0:1], s9, v11
	s_or_b64 s[0:1], vcc, s[0:1]
	v_mov_b32_e32 v12, v8
	s_or_b64 s[4:5], s[2:3], s[0:1]
	v_mov_b32_e32 v11, v7
	v_mov_b32_e32 v26, v24
	s_branch .LBB66_14
.LBB66_13:                              ;   in Loop: Header=BB66_14 Depth=4
	s_add_i32 s74, s74, 1
	v_mov_b32_e32 v13, s51
	v_add_co_u32_e32 v11, vcc, s65, v11
	v_add_u32_e32 v26, s22, v26
	s_cmp_eq_u32 s74, s34
	v_addc_co_u32_e32 v12, vcc, v12, v13, vcc
	s_cbranch_scc1 .LBB66_10
.LBB66_14:                              ;   Parent Loop BB66_3 Depth=1
                                        ;     Parent Loop BB66_8 Depth=2
                                        ;       Parent Loop BB66_11 Depth=3
                                        ; =>      This Loop Header: Depth=4
                                        ;           Child Loop BB66_17 Depth 5
	s_andn2_b64 vcc, exec, s[44:45]
	s_cbranch_vccnz .LBB66_13
; %bb.15:                               ;   in Loop: Header=BB66_14 Depth=4
	v_add_co_u32_e32 v15, vcc, v9, v26
	v_addc_co_u32_e32 v13, vcc, 0, v10, vcc
	v_mul_lo_u32 v16, s35, v13
	v_mov_b32_e32 v13, s24
	v_mov_b32_e32 v14, s25
	v_mul_lo_u32 v27, s50, v15
	v_mad_u64_u32 v[13:14], s[0:1], s35, v15, v[13:14]
	s_mul_i32 s0, s74, s22
	v_add_u32_e32 v15, s0, v24
	v_cmp_gt_i32_e32 vcc, 0, v15
	v_cmp_le_i32_e64 s[0:1], s10, v15
	v_add3_u32 v14, v27, v14, v16
	s_or_b64 s[0:1], vcc, s[0:1]
	v_mov_b32_e32 v16, v12
	s_nor_b64 s[0:1], s[4:5], s[0:1]
	v_mov_b32_e32 v15, v11
	s_mov_b32 s75, s13
	s_branch .LBB66_17
.LBB66_16:                              ;   in Loop: Header=BB66_17 Depth=5
	s_or_b64 exec, exec, s[30:31]
	v_add_co_u32_e32 v13, vcc, 1, v13
	v_addc_co_u32_e32 v14, vcc, 0, v14, vcc
	s_add_i32 s75, s75, -1
	v_add_co_u32_e32 v15, vcc, 1, v15
	s_cmp_eq_u32 s75, 0
	v_addc_co_u32_e32 v16, vcc, 0, v16, vcc
	s_cbranch_scc1 .LBB66_13
.LBB66_17:                              ;   Parent Loop BB66_3 Depth=1
                                        ;     Parent Loop BB66_8 Depth=2
                                        ;       Parent Loop BB66_11 Depth=3
                                        ;         Parent Loop BB66_14 Depth=4
                                        ; =>        This Inner Loop Header: Depth=5
	s_and_saveexec_b64 s[30:31], s[0:1]
	s_cbranch_execz .LBB66_16
; %bb.18:                               ;   in Loop: Header=BB66_17 Depth=5
	global_load_sbyte v27, v[13:14], off
	global_load_sbyte v28, v[15:16], off
	s_waitcnt vmcnt(0)
	v_mad_i32_i24 v3, v28, v27, v3
	s_branch .LBB66_16
.LBB66_19:                              ;   in Loop: Header=BB66_3 Depth=1
	v_ashrrev_i32_e32 v5, 31, v4
	v_mad_i64_i32 v[4:5], s[0:1], v22, s16, v[4:5]
	v_lshlrev_b64 v[1:2], 2, v[1:2]
	v_mov_b32_e32 v8, s54
	v_mul_lo_u32 v6, v5, s33
	v_mul_lo_u32 v7, v4, s52
	v_mad_u64_u32 v[4:5], s[0:1], v4, s33, 0
	v_add3_u32 v5, v5, v7, v6
	v_lshlrev_b64 v[4:5], 2, v[4:5]
	v_add_co_u32_e32 v4, vcc, s53, v4
	v_addc_co_u32_e32 v5, vcc, v8, v5, vcc
	v_add_co_u32_e64 v1, s[0:1], v4, v1
	s_andn2_b64 vcc, exec, s[46:47]
	v_addc_co_u32_e64 v2, s[0:1], v5, v2, s[0:1]
	s_cbranch_vccnz .LBB66_2
; %bb.20:                               ;   in Loop: Header=BB66_3 Depth=1
	global_load_dword v4, v[1:2], off
	v_mul_lo_u32 v3, v3, v17
	s_waitcnt vmcnt(0)
	v_cvt_i32_f32_e32 v4, v4
	v_mad_u64_u32 v[3:4], s[0:1], v4, v18, v[3:4]
	s_branch .LBB66_2
.LBB66_21:
	s_endpgm
	.section	.rodata,"a",@progbits
	.p2align	6, 0x0
	.amdhsa_kernel naive_conv_ab_packed_fwd_ndhwc_int8_t_int32_t_float
		.amdhsa_group_segment_fixed_size 0
		.amdhsa_private_segment_fixed_size 0
		.amdhsa_kernarg_size 528
		.amdhsa_user_sgpr_count 6
		.amdhsa_user_sgpr_private_segment_buffer 1
		.amdhsa_user_sgpr_dispatch_ptr 0
		.amdhsa_user_sgpr_queue_ptr 0
		.amdhsa_user_sgpr_kernarg_segment_ptr 1
		.amdhsa_user_sgpr_dispatch_id 0
		.amdhsa_user_sgpr_flat_scratch_init 0
		.amdhsa_user_sgpr_private_segment_size 0
		.amdhsa_uses_dynamic_stack 0
		.amdhsa_system_sgpr_private_segment_wavefront_offset 0
		.amdhsa_system_sgpr_workgroup_id_x 1
		.amdhsa_system_sgpr_workgroup_id_y 0
		.amdhsa_system_sgpr_workgroup_id_z 0
		.amdhsa_system_sgpr_workgroup_info 0
		.amdhsa_system_vgpr_workitem_id 0
		.amdhsa_next_free_vgpr 29
		.amdhsa_next_free_sgpr 76
		.amdhsa_reserve_vcc 1
		.amdhsa_reserve_flat_scratch 0
		.amdhsa_float_round_mode_32 0
		.amdhsa_float_round_mode_16_64 0
		.amdhsa_float_denorm_mode_32 3
		.amdhsa_float_denorm_mode_16_64 3
		.amdhsa_dx10_clamp 1
		.amdhsa_ieee_mode 1
		.amdhsa_fp16_overflow 0
		.amdhsa_exception_fp_ieee_invalid_op 0
		.amdhsa_exception_fp_denorm_src 0
		.amdhsa_exception_fp_ieee_div_zero 0
		.amdhsa_exception_fp_ieee_overflow 0
		.amdhsa_exception_fp_ieee_underflow 0
		.amdhsa_exception_fp_ieee_inexact 0
		.amdhsa_exception_int_div_zero 0
	.end_amdhsa_kernel
	.text
.Lfunc_end66:
	.size	naive_conv_ab_packed_fwd_ndhwc_int8_t_int32_t_float, .Lfunc_end66-naive_conv_ab_packed_fwd_ndhwc_int8_t_int32_t_float
                                        ; -- End function
	.set naive_conv_ab_packed_fwd_ndhwc_int8_t_int32_t_float.num_vgpr, 29
	.set naive_conv_ab_packed_fwd_ndhwc_int8_t_int32_t_float.num_agpr, 0
	.set naive_conv_ab_packed_fwd_ndhwc_int8_t_int32_t_float.numbered_sgpr, 76
	.set naive_conv_ab_packed_fwd_ndhwc_int8_t_int32_t_float.num_named_barrier, 0
	.set naive_conv_ab_packed_fwd_ndhwc_int8_t_int32_t_float.private_seg_size, 0
	.set naive_conv_ab_packed_fwd_ndhwc_int8_t_int32_t_float.uses_vcc, 1
	.set naive_conv_ab_packed_fwd_ndhwc_int8_t_int32_t_float.uses_flat_scratch, 0
	.set naive_conv_ab_packed_fwd_ndhwc_int8_t_int32_t_float.has_dyn_sized_stack, 0
	.set naive_conv_ab_packed_fwd_ndhwc_int8_t_int32_t_float.has_recursion, 0
	.set naive_conv_ab_packed_fwd_ndhwc_int8_t_int32_t_float.has_indirect_call, 0
	.section	.AMDGPU.csdata,"",@progbits
; Kernel info:
; codeLenInByte = 1852
; TotalNumSgprs: 80
; NumVgprs: 29
; ScratchSize: 0
; MemoryBound: 0
; FloatMode: 240
; IeeeMode: 1
; LDSByteSize: 0 bytes/workgroup (compile time only)
; SGPRBlocks: 9
; VGPRBlocks: 7
; NumSGPRsForWavesPerEU: 80
; NumVGPRsForWavesPerEU: 29
; Occupancy: 8
; WaveLimiterHint : 1
; COMPUTE_PGM_RSRC2:SCRATCH_EN: 0
; COMPUTE_PGM_RSRC2:USER_SGPR: 6
; COMPUTE_PGM_RSRC2:TRAP_HANDLER: 0
; COMPUTE_PGM_RSRC2:TGID_X_EN: 1
; COMPUTE_PGM_RSRC2:TGID_Y_EN: 0
; COMPUTE_PGM_RSRC2:TGID_Z_EN: 0
; COMPUTE_PGM_RSRC2:TIDIG_COMP_CNT: 0
	.text
	.protected	naive_conv_ab_nonpacked_fwd_ndhwc_int8_t_int32_t_float ; -- Begin function naive_conv_ab_nonpacked_fwd_ndhwc_int8_t_int32_t_float
	.globl	naive_conv_ab_nonpacked_fwd_ndhwc_int8_t_int32_t_float
	.p2align	8
	.type	naive_conv_ab_nonpacked_fwd_ndhwc_int8_t_int32_t_float,@function
naive_conv_ab_nonpacked_fwd_ndhwc_int8_t_int32_t_float: ; @naive_conv_ab_nonpacked_fwd_ndhwc_int8_t_int32_t_float
; %bb.0:
	s_load_dwordx16 s[8:23], s[4:5], 0xb8
	s_abs_i32 s7, s6
	s_waitcnt lgkmcnt(0)
	s_abs_i32 s1, s14
	v_cvt_f32_u32_e32 v1, s1
	s_sub_i32 s2, 0, s1
	s_mul_i32 s0, s14, s11
	s_mul_i32 s75, s16, s12
	v_rcp_iflag_f32_e32 v1, v1
	v_mul_f32_e32 v1, 0x4f7ffffe, v1
	v_cvt_u32_f32_e32 v1, v1
	v_readfirstlane_b32 s3, v1
	s_mul_i32 s2, s2, s3
	s_mul_hi_u32 s2, s3, s2
	s_add_i32 s3, s3, s2
	s_mul_hi_u32 s2, s7, s3
	s_mul_i32 s3, s2, s1
	s_sub_i32 s3, s7, s3
	s_add_i32 s24, s2, 1
	s_sub_i32 s25, s3, s1
	s_cmp_ge_u32 s3, s1
	s_cselect_b32 s2, s24, s2
	s_cselect_b32 s3, s25, s3
	s_add_i32 s24, s2, 1
	s_cmp_ge_u32 s3, s1
	s_cselect_b32 s1, s24, s2
	s_abs_i32 s25, s11
	s_abs_i32 s24, s0
	v_cvt_f32_u32_e32 v1, s25
	v_cvt_f32_u32_e32 v2, s24
	s_mul_i32 s11, s75, s15
	v_cmp_gt_i32_e32 vcc, s11, v0
	v_rcp_iflag_f32_e32 v1, v1
	v_rcp_iflag_f32_e32 v2, v2
	v_mul_f32_e32 v1, 0x4f7ffffe, v1
	v_mul_f32_e32 v2, 0x4f7ffffe, v2
	v_cvt_u32_f32_e32 v1, v1
	v_cvt_u32_f32_e32 v2, v2
	v_readfirstlane_b32 s3, v1
	v_readfirstlane_b32 s2, v2
	s_and_saveexec_b64 s[26:27], vcc
	s_cbranch_execz .LBB67_21
; %bb.1:
	s_ashr_i32 s15, s6, 31
	s_ashr_i32 s26, s14, 31
	s_xor_b32 s26, s15, s26
	s_xor_b32 s1, s1, s26
	s_sub_i32 s26, s1, s26
	s_sub_i32 s1, 0, s25
	s_mul_i32 s1, s1, s3
	s_mul_hi_u32 s1, s3, s1
	s_abs_i32 s28, s26
	s_add_i32 s3, s3, s1
	s_mul_hi_u32 s29, s28, s3
	s_ashr_i32 s30, s0, 31
	s_sub_i32 s0, 0, s24
	s_ashr_i32 s27, s26, 31
	s_mul_i32 s0, s0, s2
	s_mul_i32 s26, s26, s14
	;; [unrolled: 1-line block ×3, first 2 shown]
	s_mul_hi_u32 s0, s2, s0
	s_sub_i32 s26, s6, s26
	s_sub_i32 s6, s28, s29
	s_add_i32 s2, s2, s0
	s_sub_i32 s14, s6, s25
	s_cmp_ge_u32 s6, s25
	s_cselect_b32 s6, s14, s6
	s_sub_i32 s14, s6, s25
	s_mul_hi_u32 s31, s7, s2
	s_cmp_ge_u32 s6, s25
	s_cselect_b32 s6, s14, s6
	s_mul_i32 s14, s31, s24
	s_xor_b32 s6, s6, s27
	s_sub_i32 s7, s7, s14
	s_sub_i32 s78, s6, s27
	s_xor_b32 s6, s15, s30
	s_add_i32 s14, s31, 1
	s_sub_i32 s15, s7, s24
	s_cmp_ge_u32 s7, s24
	s_cselect_b32 s14, s14, s31
	s_cselect_b32 s7, s15, s7
	s_add_i32 s15, s14, 1
	s_load_dwordx16 s[36:51], s[4:5], 0x28
	s_load_dwordx4 s[0:3], s[4:5], 0xa8
	s_cmp_ge_u32 s7, s24
	s_cselect_b32 s7, s15, s14
	s_xor_b32 s7, s7, s6
	s_sub_i32 s79, s7, s6
	s_ashr_i32 s6, s78, 31
	s_waitcnt lgkmcnt(0)
	s_mul_i32 s7, s46, s6
	s_mul_hi_u32 s14, s46, s78
	s_add_i32 s7, s14, s7
	s_mul_i32 s14, s47, s78
	s_add_i32 s80, s7, s14
	s_ashr_i32 s7, s79, 31
	s_mul_i32 s14, s38, s7
	s_mul_hi_u32 s15, s38, s79
	s_add_i32 s14, s15, s14
	s_mul_i32 s15, s39, s79
	s_add_i32 s81, s14, s15
	s_mul_i32 s6, s2, s6
	s_mul_hi_u32 s14, s2, s78
	s_load_dwordx16 s[52:67], s[4:5], 0x68
	s_add_i32 s6, s14, s6
	s_mul_i32 s3, s3, s78
	s_add_i32 s3, s6, s3
	s_ashr_i32 s6, s26, 31
	s_mul_i32 s6, s0, s6
	s_mul_hi_u32 s14, s0, s26
	s_add_i32 s6, s14, s6
	s_mul_i32 s1, s1, s26
	s_add_i32 s1, s6, s1
	s_waitcnt lgkmcnt(0)
	s_mul_i32 s6, s58, s7
	s_mul_hi_u32 s14, s58, s79
	s_add_i32 s6, s14, s6
	s_mul_i32 s14, s59, s79
	s_load_dwordx4 s[68:71], s[4:5], 0xf8
	s_add_i32 s82, s6, s14
	s_mul_i32 s14, s62, s7
	s_load_dwordx2 s[6:7], s[4:5], 0x20
	s_mul_hi_u32 s15, s62, s79
	s_mul_i32 s2, s2, s78
	s_add_i32 s14, s15, s14
	s_mul_i32 s15, s63, s79
	s_add_i32 s15, s14, s15
	s_lshl_b64 s[2:3], s[2:3], 2
	s_mul_i32 s0, s0, s26
	s_waitcnt lgkmcnt(0)
	s_add_u32 s2, s6, s2
	s_addc_u32 s3, s7, s3
	s_lshl_b64 s[0:1], s[0:1], 2
	s_add_u32 s2, s2, s0
	s_mul_i32 s14, s62, s79
	s_addc_u32 s3, s3, s1
	s_lshl_b64 s[0:1], s[14:15], 2
	s_add_u32 s33, s2, s0
	s_load_dword s47, s[4:5], 0x108
	s_addc_u32 s39, s3, s1
	s_cmp_lt_i32 s70, 1
	s_mul_i32 s26, s26, s17
	s_cselect_b64 s[6:7], -1, 0
	s_sub_i32 s23, s26, s23
	s_cmp_gt_i32 s71, 0
	s_load_dword s17, s[4:5], 0x11c
	s_cselect_b64 s[14:15], -1, 0
	s_waitcnt lgkmcnt(0)
	s_cmp_gt_i32 s47, 0
	s_cselect_b64 s[34:35], -1, 0
	s_cmp_gt_i32 s13, 0
	s_load_dwordx8 s[24:31], s[4:5], 0x0
	s_cselect_b64 s[62:63], -1, 0
	s_ashr_i32 s74, s75, 31
	s_abs_i32 s75, s75
	s_abs_i32 s76, s12
	;; [unrolled: 1-line block ×3, first 2 shown]
	v_cvt_f32_u32_e32 v1, s76
	v_cvt_f32_u32_e32 v3, s77
	;; [unrolled: 1-line block ×3, first 2 shown]
	s_waitcnt lgkmcnt(0)
	v_cmp_neq_f64_e64 s[0:1], s[28:29], 1.0
	v_cmp_neq_f64_e64 s[2:3], s[30:31], 0
	v_rcp_iflag_f32_e32 v1, v1
	v_rcp_iflag_f32_e32 v3, v3
	;; [unrolled: 1-line block ×3, first 2 shown]
	s_and_b32 s59, s17, 0xffff
	v_mul_f32_e32 v1, 0x4f7ffffe, v1
	v_mul_f32_e32 v3, 0x4f7ffffe, v3
	;; [unrolled: 1-line block ×3, first 2 shown]
	v_cvt_u32_f32_e32 v1, v1
	v_cvt_u32_f32_e32 v3, v3
	;; [unrolled: 1-line block ×3, first 2 shown]
	s_or_b64 s[72:73], s[0:1], s[2:3]
	s_sub_i32 s1, 0, s76
	s_sub_i32 s2, 0, s77
	s_sub_i32 s3, 0, s75
	v_mul_lo_u32 v2, s1, v1
	v_mul_lo_u32 v4, s2, v3
	;; [unrolled: 1-line block ×3, first 2 shown]
	s_mul_i32 s0, s58, s79
	s_ashr_i32 s58, s12, 31
	s_add_u32 s16, s26, s0
	s_addc_u32 s17, s27, s82
	s_mul_i32 s0, s46, s78
	s_mul_i32 s4, s38, s79
	v_mul_hi_u32 v2, v1, v2
	v_mul_hi_u32 v4, v3, v4
	;; [unrolled: 1-line block ×3, first 2 shown]
	s_add_u32 s0, s4, s0
	v_cvt_i32_f64_e32 v14, s[28:29]
	v_cvt_i32_f64_e32 v15, s[30:31]
	s_addc_u32 s4, s81, s80
	s_add_u32 s30, s24, s0
	s_addc_u32 s31, s25, s4
	v_add_u32_e32 v16, v1, v2
	v_add_u32_e32 v17, v3, v4
	;; [unrolled: 1-line block ×3, first 2 shown]
	s_mov_b64 s[24:25], 0
	s_branch .LBB67_3
.LBB67_2:                               ;   in Loop: Header=BB67_3 Depth=1
	v_cvt_f32_i32_e32 v1, v1
	v_add_u32_e32 v0, s59, v0
	v_cmp_le_i32_e32 vcc, s11, v0
	s_or_b64 s[24:25], vcc, s[24:25]
	global_store_dword v[3:4], v1, off
	s_andn2_b64 exec, exec, s[24:25]
	s_cbranch_execz .LBB67_21
.LBB67_3:                               ; =>This Loop Header: Depth=1
                                        ;     Child Loop BB67_8 Depth 2
                                        ;       Child Loop BB67_11 Depth 3
                                        ;         Child Loop BB67_14 Depth 4
                                        ;           Child Loop BB67_17 Depth 5
	v_sub_u32_e32 v1, 0, v0
	v_max_i32_e32 v5, v0, v1
	v_mul_hi_u32 v2, v5, v16
	v_ashrrev_i32_e32 v1, 31, v0
	v_xor_b32_e32 v4, s58, v1
	s_mov_b64 s[26:27], -1
	v_mul_lo_u32 v3, v2, s76
	v_add_u32_e32 v6, 1, v2
                                        ; implicit-def: $vgpr20
	v_sub_u32_e32 v3, v5, v3
	v_cmp_le_u32_e32 vcc, s76, v3
	v_cndmask_b32_e32 v2, v2, v6, vcc
	v_subrev_u32_e32 v6, s76, v3
	v_cndmask_b32_e32 v3, v3, v6, vcc
	v_add_u32_e32 v6, 1, v2
	v_cmp_le_u32_e32 vcc, s76, v3
	v_cndmask_b32_e32 v2, v2, v6, vcc
	v_xor_b32_e32 v2, v2, v4
	v_sub_u32_e32 v2, v2, v4
	v_sub_u32_e32 v3, 0, v2
	v_max_i32_e32 v4, v2, v3
	v_mul_hi_u32 v6, v4, v17
	v_mul_hi_u32 v3, v5, v18
	v_mul_lo_u32 v7, v2, s12
	v_mul_lo_u32 v6, v6, s77
	;; [unrolled: 1-line block ×3, first 2 shown]
	v_sub_u32_e32 v19, v0, v7
	v_sub_u32_e32 v4, v4, v6
	v_subrev_u32_e32 v6, s77, v4
	v_cmp_le_u32_e32 vcc, s77, v4
	v_sub_u32_e32 v5, v5, v8
	v_cndmask_b32_e32 v4, v4, v6, vcc
	v_subrev_u32_e32 v6, s75, v5
	v_cmp_le_u32_e64 s[0:1], s75, v5
	v_cndmask_b32_e64 v5, v5, v6, s[0:1]
	v_cmp_le_u32_e64 s[4:5], s77, v4
	v_cmp_le_u32_e64 s[2:3], s75, v5
	s_andn2_b64 vcc, exec, s[6:7]
	s_cbranch_vccnz .LBB67_5
; %bb.4:                                ;   in Loop: Header=BB67_3 Depth=1
	v_ashrrev_i32_e32 v20, 31, v19
	s_mov_b64 s[26:27], 0
.LBB67_5:                               ;   in Loop: Header=BB67_3 Depth=1
	v_subrev_u32_e32 v5, s77, v4
	v_ashrrev_i32_e32 v2, 31, v2
	v_cndmask_b32_e64 v4, v4, v5, s[4:5]
	v_xor_b32_e32 v4, v4, v2
	v_sub_u32_e32 v21, v4, v2
	v_add_u32_e32 v2, 1, v3
	v_cndmask_b32_e64 v2, v3, v2, s[0:1]
	v_add_u32_e32 v3, 1, v2
	v_xor_b32_e32 v1, s74, v1
	v_cndmask_b32_e64 v2, v2, v3, s[2:3]
	v_xor_b32_e32 v2, v2, v1
	v_sub_u32_e32 v22, v2, v1
	s_andn2_b64 vcc, exec, s[26:27]
	v_mov_b32_e32 v1, 0
	s_cbranch_vccnz .LBB67_19
; %bb.6:                                ;   in Loop: Header=BB67_3 Depth=1
	v_mov_b32_e32 v1, s16
	v_ashrrev_i32_e32 v20, 31, v19
	v_mov_b32_e32 v2, s17
	v_mul_lo_u32 v4, v22, s18
	v_mul_lo_u32 v5, v21, s19
	v_mad_u64_u32 v[2:3], s[0:1], s56, v19, v[1:2]
	v_mul_lo_u32 v1, s57, v19
	v_mul_lo_u32 v6, s56, v20
	v_subrev_u32_e32 v23, s68, v4
	v_subrev_u32_e32 v24, s69, v5
	s_mov_b32 s38, 0
	v_add3_u32 v3, v1, v3, v6
	v_mov_b32_e32 v1, 0
	s_mov_b32 s46, s23
	s_branch .LBB67_8
.LBB67_7:                               ;   in Loop: Header=BB67_8 Depth=2
	s_add_i32 s38, s38, 1
	v_mov_b32_e32 v4, s55
	s_add_i32 s46, s46, s20
	v_add_co_u32_e32 v2, vcc, s54, v2
	s_cmp_eq_u32 s38, s70
	v_addc_co_u32_e32 v3, vcc, v3, v4, vcc
	s_cbranch_scc1 .LBB67_19
.LBB67_8:                               ;   Parent Loop BB67_3 Depth=1
                                        ; =>  This Loop Header: Depth=2
                                        ;       Child Loop BB67_11 Depth 3
                                        ;         Child Loop BB67_14 Depth 4
                                        ;           Child Loop BB67_17 Depth 5
	s_andn2_b64 vcc, exec, s[14:15]
	s_cbranch_vccnz .LBB67_7
; %bb.9:                                ;   in Loop: Header=BB67_8 Depth=2
	s_mul_i32 s0, s45, s46
	s_mul_hi_u32 s1, s44, s46
	s_add_i32 s5, s1, s0
	s_mul_i32 s0, s38, s20
	s_add_i32 s2, s0, s23
	s_cmp_lt_i32 s2, 0
	s_cselect_b64 s[0:1], -1, 0
	s_cmp_ge_i32 s2, s8
	s_cselect_b64 s[2:3], -1, 0
	s_mul_i32 s4, s44, s46
	s_or_b64 s[2:3], s[0:1], s[2:3]
	s_add_u32 s4, s30, s4
	v_mov_b32_e32 v5, v3
	s_mov_b32 s78, 0
	s_addc_u32 s5, s31, s5
	v_mov_b32_e32 v25, v23
	v_mov_b32_e32 v4, v2
	s_branch .LBB67_11
.LBB67_10:                              ;   in Loop: Header=BB67_11 Depth=3
	s_add_i32 s78, s78, 1
	v_mov_b32_e32 v6, s53
	v_add_co_u32_e32 v4, vcc, s52, v4
	v_addc_co_u32_e32 v5, vcc, v5, v6, vcc
	s_cmp_eq_u32 s78, s71
	v_add_u32_e32 v25, s21, v25
	s_cbranch_scc1 .LBB67_7
.LBB67_11:                              ;   Parent Loop BB67_3 Depth=1
                                        ;     Parent Loop BB67_8 Depth=2
                                        ; =>    This Loop Header: Depth=3
                                        ;         Child Loop BB67_14 Depth 4
                                        ;           Child Loop BB67_17 Depth 5
	s_andn2_b64 vcc, exec, s[34:35]
	s_cbranch_vccnz .LBB67_10
; %bb.12:                               ;   in Loop: Header=BB67_11 Depth=3
	v_mov_b32_e32 v7, s5
	v_mov_b32_e32 v6, s4
	v_mad_u64_u32 v[6:7], s[0:1], s42, v25, v[6:7]
	s_mul_i32 s26, s78, s21
	v_add_u32_e32 v9, s26, v23
	v_mad_u64_u32 v[7:8], s[0:1], s43, v25, v[7:8]
	v_cmp_gt_i32_e32 vcc, 0, v9
	v_cmp_le_i32_e64 s[0:1], s9, v9
	s_or_b64 s[0:1], vcc, s[0:1]
	v_mov_b32_e32 v9, v5
	s_mov_b32 s79, 0
	s_or_b64 s[26:27], s[2:3], s[0:1]
	v_mov_b32_e32 v26, v24
	v_mov_b32_e32 v8, v4
	s_branch .LBB67_14
.LBB67_13:                              ;   in Loop: Header=BB67_14 Depth=4
	s_add_i32 s79, s79, 1
	v_mov_b32_e32 v10, s51
	v_add_co_u32_e32 v8, vcc, s50, v8
	v_addc_co_u32_e32 v9, vcc, v9, v10, vcc
	s_cmp_eq_u32 s79, s47
	v_add_u32_e32 v26, s22, v26
	s_cbranch_scc1 .LBB67_10
.LBB67_14:                              ;   Parent Loop BB67_3 Depth=1
                                        ;     Parent Loop BB67_8 Depth=2
                                        ;       Parent Loop BB67_11 Depth=3
                                        ; =>      This Loop Header: Depth=4
                                        ;           Child Loop BB67_17 Depth 5
	s_andn2_b64 vcc, exec, s[62:63]
	s_cbranch_vccnz .LBB67_13
; %bb.15:                               ;   in Loop: Header=BB67_14 Depth=4
	v_mad_u64_u32 v[10:11], s[0:1], s40, v26, v[6:7]
	s_mul_i32 s28, s79, s22
	s_mov_b32 s80, s13
	v_mad_u64_u32 v[11:12], s[0:1], s41, v26, v[11:12]
	v_add_u32_e32 v12, s28, v24
	v_cmp_gt_i32_e32 vcc, 0, v12
	v_cmp_le_i32_e64 s[0:1], s10, v12
	s_or_b64 s[0:1], vcc, s[0:1]
	v_mov_b32_e32 v13, v9
	s_nor_b64 s[0:1], s[26:27], s[0:1]
	v_mov_b32_e32 v12, v8
	s_branch .LBB67_17
.LBB67_16:                              ;   in Loop: Header=BB67_17 Depth=5
	s_or_b64 exec, exec, s[28:29]
	v_mov_b32_e32 v27, s49
	v_add_co_u32_e32 v12, vcc, s48, v12
	v_addc_co_u32_e32 v13, vcc, v13, v27, vcc
	s_add_i32 s80, s80, -1
	v_mov_b32_e32 v27, s37
	v_add_co_u32_e32 v10, vcc, s36, v10
	s_cmp_eq_u32 s80, 0
	v_addc_co_u32_e32 v11, vcc, v11, v27, vcc
	s_cbranch_scc1 .LBB67_13
.LBB67_17:                              ;   Parent Loop BB67_3 Depth=1
                                        ;     Parent Loop BB67_8 Depth=2
                                        ;       Parent Loop BB67_11 Depth=3
                                        ;         Parent Loop BB67_14 Depth=4
                                        ; =>        This Inner Loop Header: Depth=5
	s_and_saveexec_b64 s[28:29], s[0:1]
	s_cbranch_execz .LBB67_16
; %bb.18:                               ;   in Loop: Header=BB67_17 Depth=5
	global_load_sbyte v27, v[10:11], off
	global_load_sbyte v28, v[12:13], off
	s_waitcnt vmcnt(0)
	v_mad_i32_i24 v1, v28, v27, v1
	s_branch .LBB67_16
.LBB67_19:                              ;   in Loop: Header=BB67_3 Depth=1
	v_ashrrev_i32_e32 v4, 31, v21
	v_mul_lo_u32 v10, s65, v21
	v_mul_lo_u32 v11, s64, v4
	v_mad_u64_u32 v[4:5], s[0:1], s64, v21, 0
	v_ashrrev_i32_e32 v2, 31, v22
	v_mul_lo_u32 v8, s67, v22
	v_mul_lo_u32 v9, s66, v2
	v_mad_u64_u32 v[2:3], s[0:1], s66, v22, 0
	v_mul_lo_u32 v12, v20, s60
	v_mul_lo_u32 v13, v19, s61
	v_mad_u64_u32 v[6:7], s[0:1], v19, s60, 0
	v_add3_u32 v5, v5, v11, v10
	v_lshlrev_b64 v[4:5], 2, v[4:5]
	v_add3_u32 v3, v3, v9, v8
	v_add3_u32 v7, v7, v13, v12
	v_mov_b32_e32 v8, s39
	v_add_co_u32_e32 v9, vcc, s33, v4
	v_addc_co_u32_e32 v8, vcc, v8, v5, vcc
	v_lshlrev_b64 v[4:5], 2, v[6:7]
	v_add_co_u32_e32 v6, vcc, v9, v4
	v_lshlrev_b64 v[3:4], 2, v[2:3]
	v_addc_co_u32_e32 v5, vcc, v8, v5, vcc
	v_add_co_u32_e64 v3, s[0:1], v6, v3
	s_andn2_b64 vcc, exec, s[72:73]
	v_addc_co_u32_e64 v4, s[0:1], v5, v4, s[0:1]
	s_cbranch_vccnz .LBB67_2
; %bb.20:                               ;   in Loop: Header=BB67_3 Depth=1
	global_load_dword v2, v[3:4], off
	v_mul_lo_u32 v1, v1, v14
	s_waitcnt vmcnt(0)
	v_cvt_i32_f32_e32 v2, v2
	v_mad_u64_u32 v[1:2], s[0:1], v2, v15, v[1:2]
	s_branch .LBB67_2
.LBB67_21:
	s_endpgm
	.section	.rodata,"a",@progbits
	.p2align	6, 0x0
	.amdhsa_kernel naive_conv_ab_nonpacked_fwd_ndhwc_int8_t_int32_t_float
		.amdhsa_group_segment_fixed_size 0
		.amdhsa_private_segment_fixed_size 0
		.amdhsa_kernarg_size 528
		.amdhsa_user_sgpr_count 6
		.amdhsa_user_sgpr_private_segment_buffer 1
		.amdhsa_user_sgpr_dispatch_ptr 0
		.amdhsa_user_sgpr_queue_ptr 0
		.amdhsa_user_sgpr_kernarg_segment_ptr 1
		.amdhsa_user_sgpr_dispatch_id 0
		.amdhsa_user_sgpr_flat_scratch_init 0
		.amdhsa_user_sgpr_private_segment_size 0
		.amdhsa_uses_dynamic_stack 0
		.amdhsa_system_sgpr_private_segment_wavefront_offset 0
		.amdhsa_system_sgpr_workgroup_id_x 1
		.amdhsa_system_sgpr_workgroup_id_y 0
		.amdhsa_system_sgpr_workgroup_id_z 0
		.amdhsa_system_sgpr_workgroup_info 0
		.amdhsa_system_vgpr_workitem_id 0
		.amdhsa_next_free_vgpr 29
		.amdhsa_next_free_sgpr 83
		.amdhsa_reserve_vcc 1
		.amdhsa_reserve_flat_scratch 0
		.amdhsa_float_round_mode_32 0
		.amdhsa_float_round_mode_16_64 0
		.amdhsa_float_denorm_mode_32 3
		.amdhsa_float_denorm_mode_16_64 3
		.amdhsa_dx10_clamp 1
		.amdhsa_ieee_mode 1
		.amdhsa_fp16_overflow 0
		.amdhsa_exception_fp_ieee_invalid_op 0
		.amdhsa_exception_fp_denorm_src 0
		.amdhsa_exception_fp_ieee_div_zero 0
		.amdhsa_exception_fp_ieee_overflow 0
		.amdhsa_exception_fp_ieee_underflow 0
		.amdhsa_exception_fp_ieee_inexact 0
		.amdhsa_exception_int_div_zero 0
	.end_amdhsa_kernel
	.text
.Lfunc_end67:
	.size	naive_conv_ab_nonpacked_fwd_ndhwc_int8_t_int32_t_float, .Lfunc_end67-naive_conv_ab_nonpacked_fwd_ndhwc_int8_t_int32_t_float
                                        ; -- End function
	.set naive_conv_ab_nonpacked_fwd_ndhwc_int8_t_int32_t_float.num_vgpr, 29
	.set naive_conv_ab_nonpacked_fwd_ndhwc_int8_t_int32_t_float.num_agpr, 0
	.set naive_conv_ab_nonpacked_fwd_ndhwc_int8_t_int32_t_float.numbered_sgpr, 83
	.set naive_conv_ab_nonpacked_fwd_ndhwc_int8_t_int32_t_float.num_named_barrier, 0
	.set naive_conv_ab_nonpacked_fwd_ndhwc_int8_t_int32_t_float.private_seg_size, 0
	.set naive_conv_ab_nonpacked_fwd_ndhwc_int8_t_int32_t_float.uses_vcc, 1
	.set naive_conv_ab_nonpacked_fwd_ndhwc_int8_t_int32_t_float.uses_flat_scratch, 0
	.set naive_conv_ab_nonpacked_fwd_ndhwc_int8_t_int32_t_float.has_dyn_sized_stack, 0
	.set naive_conv_ab_nonpacked_fwd_ndhwc_int8_t_int32_t_float.has_recursion, 0
	.set naive_conv_ab_nonpacked_fwd_ndhwc_int8_t_int32_t_float.has_indirect_call, 0
	.section	.AMDGPU.csdata,"",@progbits
; Kernel info:
; codeLenInByte = 1888
; TotalNumSgprs: 87
; NumVgprs: 29
; ScratchSize: 0
; MemoryBound: 0
; FloatMode: 240
; IeeeMode: 1
; LDSByteSize: 0 bytes/workgroup (compile time only)
; SGPRBlocks: 10
; VGPRBlocks: 7
; NumSGPRsForWavesPerEU: 87
; NumVGPRsForWavesPerEU: 29
; Occupancy: 8
; WaveLimiterHint : 1
; COMPUTE_PGM_RSRC2:SCRATCH_EN: 0
; COMPUTE_PGM_RSRC2:USER_SGPR: 6
; COMPUTE_PGM_RSRC2:TRAP_HANDLER: 0
; COMPUTE_PGM_RSRC2:TGID_X_EN: 1
; COMPUTE_PGM_RSRC2:TGID_Y_EN: 0
; COMPUTE_PGM_RSRC2:TGID_Z_EN: 0
; COMPUTE_PGM_RSRC2:TIDIG_COMP_CNT: 0
	.text
	.protected	naive_conv_ab_packed_bwd_ncdhw_float_double_float ; -- Begin function naive_conv_ab_packed_bwd_ncdhw_float_double_float
	.globl	naive_conv_ab_packed_bwd_ncdhw_float_double_float
	.p2align	8
	.type	naive_conv_ab_packed_bwd_ncdhw_float_double_float,@function
naive_conv_ab_packed_bwd_ncdhw_float_double_float: ; @naive_conv_ab_packed_bwd_ncdhw_float_double_float
; %bb.0:
	s_load_dwordx16 s[8:23], s[4:5], 0xb8
	s_abs_i32 s7, s6
	s_waitcnt lgkmcnt(0)
	s_abs_i32 s1, s13
	v_cvt_f32_u32_e32 v1, s1
	s_sub_i32 s2, 0, s1
	s_mul_i32 s0, s13, s11
	s_mul_i32 s43, s10, s9
	v_rcp_iflag_f32_e32 v1, v1
	v_mul_f32_e32 v1, 0x4f7ffffe, v1
	v_cvt_u32_f32_e32 v1, v1
	v_readfirstlane_b32 s3, v1
	s_mul_i32 s2, s2, s3
	s_mul_hi_u32 s2, s3, s2
	s_add_i32 s3, s3, s2
	s_mul_hi_u32 s2, s7, s3
	s_mul_i32 s3, s2, s1
	s_sub_i32 s3, s7, s3
	s_add_i32 s24, s2, 1
	s_sub_i32 s25, s3, s1
	s_cmp_ge_u32 s3, s1
	s_cselect_b32 s2, s24, s2
	s_cselect_b32 s3, s25, s3
	s_add_i32 s24, s2, 1
	s_cmp_ge_u32 s3, s1
	s_cselect_b32 s1, s24, s2
	s_abs_i32 s34, s11
	s_abs_i32 s33, s0
	v_cvt_f32_u32_e32 v1, s34
	v_cvt_f32_u32_e32 v2, s33
	s_mul_i32 s11, s43, s8
	v_cmp_gt_i32_e32 vcc, s11, v0
	v_rcp_iflag_f32_e32 v1, v1
	v_rcp_iflag_f32_e32 v2, v2
	v_mul_f32_e32 v1, 0x4f7ffffe, v1
	v_mul_f32_e32 v2, 0x4f7ffffe, v2
	v_cvt_u32_f32_e32 v1, v1
	v_cvt_u32_f32_e32 v2, v2
	v_readfirstlane_b32 s3, v1
	v_readfirstlane_b32 s2, v2
	s_and_saveexec_b64 s[24:25], vcc
	s_cbranch_execz .LBB68_36
; %bb.1:
	s_ashr_i32 s35, s6, 31
	s_ashr_i32 s42, s13, 31
	s_xor_b32 s36, s35, s42
	s_xor_b32 s1, s1, s36
	s_sub_i32 s40, s1, s36
	s_sub_i32 s1, 0, s34
	s_mul_i32 s1, s1, s3
	s_mul_hi_u32 s1, s3, s1
	s_ashr_i32 s46, s0, 31
	s_sub_i32 s0, 0, s33
	s_abs_i32 s44, s40
	s_add_i32 s3, s3, s1
	s_mul_i32 s0, s0, s2
	s_mul_hi_u32 s45, s44, s3
	s_mul_hi_u32 s0, s2, s0
	s_add_i32 s0, s2, s0
	s_mul_i32 s45, s45, s34
	s_load_dwordx8 s[24:31], s[4:5], 0x0
	s_ashr_i32 s41, s40, 31
	s_load_dwordx2 s[2:3], s[4:5], 0x108
	s_mul_hi_u32 s47, s7, s0
	s_load_dwordx2 s[0:1], s[4:5], 0x20
	s_load_dwordx4 s[36:39], s[4:5], 0xf8
	s_load_dword s48, s[4:5], 0x11c
	s_mul_i32 s40, s40, s13
	s_sub_i32 s4, s44, s45
	s_sub_i32 s50, s6, s40
	s_sub_i32 s5, s4, s34
	s_cmp_ge_u32 s4, s34
	s_cselect_b32 s4, s5, s4
	s_sub_i32 s5, s4, s34
	s_cmp_ge_u32 s4, s34
	s_cselect_b32 s4, s5, s4
	s_mul_i32 s5, s47, s33
	s_xor_b32 s4, s4, s41
	s_sub_i32 s5, s7, s5
	s_sub_i32 s6, s4, s41
	s_xor_b32 s4, s35, s46
	s_add_i32 s7, s47, 1
	s_sub_i32 s34, s5, s33
	s_cmp_ge_u32 s5, s33
	s_cselect_b32 s7, s7, s47
	s_cselect_b32 s5, s34, s5
	s_add_i32 s34, s7, 1
	s_cmp_ge_u32 s5, s33
	s_cselect_b32 s5, s34, s7
	s_waitcnt lgkmcnt(0)
	s_mul_i32 s49, s3, s12
	s_mul_i32 s3, s3, s13
	s_xor_b32 s5, s5, s4
	s_sub_i32 s7, s5, s4
	s_mul_hi_i32 s4, s6, s3
	s_mul_i32 s3, s6, s3
	s_ashr_i32 s33, s10, 31
	s_ashr_i32 s44, s50, 31
	s_add_u32 s3, s3, s50
	s_mul_i32 s34, s7, s13
	s_addc_u32 s4, s4, s44
	s_mul_hi_i32 s5, s7, s13
	s_add_u32 s3, s3, s34
	s_addc_u32 s4, s4, s5
	s_mul_hi_i32 s5, s9, s8
	s_mul_i32 s8, s9, s8
	s_mul_i32 s34, s8, s33
	s_mul_hi_u32 s35, s8, s10
	s_add_i32 s34, s35, s34
	s_mul_i32 s5, s5, s10
	s_mul_i32 s8, s8, s10
	s_add_i32 s5, s34, s5
	s_mul_i32 s4, s8, s4
	s_mul_hi_u32 s34, s8, s3
	s_add_i32 s4, s34, s4
	s_mul_i32 s5, s5, s3
	s_add_i32 s5, s4, s5
	s_mul_i32 s4, s8, s3
	s_lshl_b64 s[4:5], s[4:5], 2
	s_add_u32 s52, s24, s4
	s_addc_u32 s53, s25, s5
	s_mul_i32 s5, s7, s12
	s_mul_hi_i32 s4, s7, s12
	s_mul_i32 s3, s5, s42
	s_mul_hi_u32 s7, s5, s13
	s_add_i32 s3, s7, s3
	s_mul_i32 s7, s4, s13
	s_add_i32 s8, s3, s7
	s_ashr_i32 s46, s38, 31
	s_ashr_i32 s3, s2, 31
	s_mul_hi_i32 s7, s6, s49
	s_mul_i32 s6, s6, s49
	s_ashr_i32 s54, s14, 31
	s_ashr_i32 s55, s15, 31
	;; [unrolled: 1-line block ×3, first 2 shown]
	s_add_u32 s6, s5, s6
	s_addc_u32 s4, s4, s7
	s_mul_i32 s7, s15, s14
	s_mul_i32 s45, s5, s13
	s_mul_hi_i32 s5, s15, s14
	s_mul_i32 s24, s7, s56
	s_mul_hi_u32 s25, s7, s16
	s_add_i32 s24, s25, s24
	s_mul_i32 s5, s5, s16
	s_mul_i32 s7, s7, s16
	s_add_i32 s5, s24, s5
	s_mul_i32 s4, s7, s4
	s_mul_hi_u32 s24, s7, s6
	s_add_i32 s4, s24, s4
	s_mul_i32 s5, s5, s6
	s_add_i32 s5, s4, s5
	s_mul_i32 s4, s7, s6
	s_lshl_b64 s[4:5], s[4:5], 2
	s_add_u32 s57, s0, s4
	s_addc_u32 s58, s1, s5
	s_cmp_gt_i32 s12, 0
	s_cselect_b64 s[4:5], -1, 0
	s_cmp_gt_i32 s38, 0
	s_cselect_b64 s[6:7], -1, 0
	;; [unrolled: 2-line block ×4, first 2 shown]
	s_abs_i32 s60, s10
	s_abs_i32 s61, s9
	v_cvt_f32_u32_e32 v1, s60
	v_cvt_f32_u32_e32 v2, s61
	v_cmp_neq_f64_e64 s[0:1], s[28:29], 1.0
	v_cmp_neq_f64_e64 s[40:41], s[30:31], 0
	s_abs_i32 s63, s43
	s_abs_i32 s65, s17
	;; [unrolled: 1-line block ×4, first 2 shown]
	v_rcp_iflag_f32_e32 v1, v1
	v_rcp_iflag_f32_e32 v2, v2
	v_cvt_f32_u32_e32 v3, s63
	v_cvt_f32_u32_e32 v5, s65
	;; [unrolled: 1-line block ×4, first 2 shown]
	v_mul_f32_e32 v1, 0x4f7ffffe, v1
	v_mul_f32_e32 v2, 0x4f7ffffe, v2
	v_rcp_iflag_f32_e32 v3, v3
	v_rcp_iflag_f32_e32 v5, v5
	;; [unrolled: 1-line block ×4, first 2 shown]
	v_cvt_u32_f32_e32 v1, v1
	v_cvt_u32_f32_e32 v2, v2
	s_or_b64 s[40:41], s[0:1], s[40:41]
	s_and_b32 s59, s48, 0xffff
	s_sub_i32 s47, 0, s60
	s_ashr_i32 s62, s43, 31
	s_sub_i32 s43, 0, s61
	s_sub_i32 s48, 0, s63
	s_ashr_i32 s64, s17, 31
	s_sub_i32 s17, 0, s65
	s_ashr_i32 s66, s18, 31
	;; [unrolled: 2-line block ×3, first 2 shown]
	s_sub_i32 s51, 0, s69
	s_add_u32 s18, s45, s50
	s_mul_i32 s0, s2, s39
	v_mul_f32_e32 v3, 0x4f7ffffe, v3
	v_mul_f32_e32 v5, 0x4f7ffffe, v5
	;; [unrolled: 1-line block ×4, first 2 shown]
	s_addc_u32 s1, s8, s44
	s_mul_i32 s8, s0, s38
	v_mul_lo_u32 v4, s47, v1
	v_mul_lo_u32 v6, s43, v2
	v_cvt_u32_f32_e32 v3, v3
	v_cvt_u32_f32_e32 v5, v5
	;; [unrolled: 1-line block ×4, first 2 shown]
	s_mul_i32 s1, s8, s1
	s_mul_hi_u32 s19, s8, s18
	s_add_i32 s19, s19, s1
	s_mul_i32 s1, s0, s46
	s_mul_hi_u32 s44, s0, s38
	s_add_i32 s44, s44, s1
	s_mul_hi_i32 s1, s2, s39
	s_mul_i32 s45, s1, s38
	v_mul_lo_u32 v9, s48, v3
	v_mul_lo_u32 v12, s17, v5
	;; [unrolled: 1-line block ×4, first 2 shown]
	v_mul_hi_u32 v4, v1, v4
	v_mul_hi_u32 v6, v2, v6
	s_add_i32 s44, s44, s45
	s_mul_i32 s45, s44, s18
	s_add_i32 s19, s19, s45
	s_mul_i32 s18, s8, s18
	s_lshl_b64 s[18:19], s[18:19], 2
	v_add_u32_e32 v10, v1, v4
	v_add_u32_e32 v11, v2, v6
	v_mul_hi_u32 v1, v3, v9
	v_mul_hi_u32 v2, v5, v12
	;; [unrolled: 1-line block ×4, first 2 shown]
	s_add_u32 s18, s26, s18
	s_mul_i32 s17, s8, s42
	s_mul_hi_u32 s26, s8, s13
	s_addc_u32 s19, s27, s19
	s_add_i32 s17, s26, s17
	s_mul_i32 s44, s44, s13
	s_add_i32 s27, s17, s44
	s_mul_i32 s26, s8, s13
	v_add_u32_e32 v12, v3, v1
	v_add_u32_e32 v13, v5, v2
	;; [unrolled: 1-line block ×4, first 2 shown]
	s_lshl_b64 s[26:27], s[26:27], 2
	s_lshl_b64 s[42:43], s[0:1], 2
	s_mov_b32 s13, s9
	s_mov_b32 s70, s14
	;; [unrolled: 1-line block ×4, first 2 shown]
	s_mov_b64 s[8:9], 0
	s_lshl_b64 s[14:15], s[2:3], 2
	s_branch .LBB68_3
.LBB68_2:                               ;   in Loop: Header=BB68_3 Depth=1
	v_cvt_f32_f64_e32 v3, v[3:4]
	v_add_u32_e32 v0, s59, v0
	v_cmp_le_i32_e32 vcc, s11, v0
	s_or_b64 s[8:9], vcc, s[8:9]
	global_store_dword v[1:2], v3, off
	s_andn2_b64 exec, exec, s[8:9]
	s_cbranch_execz .LBB68_36
.LBB68_3:                               ; =>This Loop Header: Depth=1
                                        ;     Child Loop BB68_6 Depth 2
                                        ;       Child Loop BB68_9 Depth 3
                                        ;         Child Loop BB68_18 Depth 4
                                        ;           Child Loop BB68_25 Depth 5
	v_sub_u32_e32 v1, 0, v0
	v_max_i32_e32 v2, v0, v1
	v_mul_hi_u32 v1, v2, v10
	v_ashrrev_i32_e32 v4, 31, v0
	v_xor_b32_e32 v5, s33, v4
	v_mul_hi_u32 v7, v2, v12
	v_mul_lo_u32 v3, v1, s60
	v_add_u32_e32 v6, 1, v1
	v_sub_u32_e32 v3, v2, v3
	v_cmp_le_u32_e32 vcc, s60, v3
	v_cndmask_b32_e32 v1, v1, v6, vcc
	v_subrev_u32_e32 v6, s60, v3
	v_cndmask_b32_e32 v3, v3, v6, vcc
	v_add_u32_e32 v6, 1, v1
	v_cmp_le_u32_e32 vcc, s60, v3
	v_cndmask_b32_e32 v1, v1, v6, vcc
	v_xor_b32_e32 v1, v1, v5
	v_sub_u32_e32 v1, v1, v5
	v_sub_u32_e32 v3, 0, v1
	v_max_i32_e32 v3, v1, v3
	v_mul_hi_u32 v5, v3, v11
	v_mul_lo_u32 v6, v1, s10
	v_ashrrev_i32_e32 v8, 31, v1
	v_mul_lo_u32 v5, v5, s61
	v_sub_u32_e32 v1, v0, v6
	v_mul_lo_u32 v6, v7, s63
	v_sub_u32_e32 v3, v3, v5
	v_subrev_u32_e32 v5, s61, v3
	v_cmp_le_u32_e32 vcc, s61, v3
	v_cndmask_b32_e32 v3, v3, v5, vcc
	v_subrev_u32_e32 v5, s61, v3
	v_cmp_le_u32_e32 vcc, s61, v3
	v_cndmask_b32_e32 v3, v3, v5, vcc
	v_xor_b32_e32 v3, v3, v8
	v_sub_u32_e32 v2, v2, v6
	v_sub_u32_e32 v5, v3, v8
	v_xor_b32_e32 v3, s62, v4
	v_add_u32_e32 v4, 1, v7
	v_cmp_le_u32_e32 vcc, s63, v2
	v_subrev_u32_e32 v6, s63, v2
	v_cndmask_b32_e32 v4, v7, v4, vcc
	v_cndmask_b32_e32 v2, v2, v6, vcc
	v_add_u32_e32 v6, 1, v4
	v_cmp_le_u32_e32 vcc, s63, v2
	v_cndmask_b32_e32 v2, v4, v6, vcc
	v_xor_b32_e32 v2, v2, v3
	s_andn2_b64 vcc, exec, s[4:5]
	v_sub_u32_e32 v2, v2, v3
	s_cbranch_vccnz .LBB68_33
; %bb.4:                                ;   in Loop: Header=BB68_3 Depth=1
	v_mov_b32_e32 v3, 0
	v_add_u32_e32 v16, s23, v2
	v_add_u32_e32 v17, s36, v5
	v_add_u32_e32 v18, s37, v1
	v_mov_b32_e32 v4, 0
	s_mov_b32 s3, 0
	s_mov_b64 s[0:1], s[18:19]
	s_branch .LBB68_6
.LBB68_5:                               ;   in Loop: Header=BB68_6 Depth=2
	s_add_i32 s3, s3, 1
	s_add_u32 s0, s0, s26
	s_addc_u32 s1, s1, s27
	s_cmp_eq_u32 s3, s12
	s_cbranch_scc1 .LBB68_34
.LBB68_6:                               ;   Parent Loop BB68_3 Depth=1
                                        ; =>  This Loop Header: Depth=2
                                        ;       Child Loop BB68_9 Depth 3
                                        ;         Child Loop BB68_18 Depth 4
                                        ;           Child Loop BB68_25 Depth 5
	s_andn2_b64 vcc, exec, s[6:7]
	s_cbranch_vccnz .LBB68_5
; %bb.7:                                ;   in Loop: Header=BB68_6 Depth=2
	s_mul_i32 s16, s3, s54
	s_mul_hi_u32 s17, s3, s70
	s_add_i32 s73, s17, s16
	s_mul_i32 s74, s3, s70
	s_mov_b32 s75, 0
	s_mov_b64 s[16:17], s[0:1]
	s_branch .LBB68_9
.LBB68_8:                               ;   in Loop: Header=BB68_9 Depth=3
	s_add_i32 s75, s75, 1
	s_add_u32 s16, s16, s42
	s_addc_u32 s17, s17, s43
	s_cmp_eq_u32 s75, s38
	s_cbranch_scc1 .LBB68_5
.LBB68_9:                               ;   Parent Loop BB68_3 Depth=1
                                        ;     Parent Loop BB68_6 Depth=2
                                        ; =>    This Loop Header: Depth=3
                                        ;         Child Loop BB68_18 Depth 4
                                        ;           Child Loop BB68_25 Depth 5
	s_mul_i32 s44, s20, s75
	v_subrev_u32_e32 v20, s44, v16
	v_sub_u32_e32 v6, 0, v20
	v_cmp_lt_i32_e32 vcc, -1, v20
	s_mov_b64 s[44:45], 0
	v_ashrrev_i32_e32 v7, 31, v20
	v_max_i32_e32 v19, v20, v6
                                        ; implicit-def: $vgpr6
                                        ; implicit-def: $vgpr8
                                        ; implicit-def: $vgpr9
	s_and_saveexec_b64 s[46:47], vcc
	s_xor_b64 s[46:47], exec, s[46:47]
	s_cbranch_execnz .LBB68_13
; %bb.10:                               ;   in Loop: Header=BB68_9 Depth=3
	s_andn2_saveexec_b64 s[46:47], s[46:47]
	s_cbranch_execnz .LBB68_14
.LBB68_11:                              ;   in Loop: Header=BB68_9 Depth=3
	s_or_b64 exec, exec, s[46:47]
	v_mov_b32_e32 v19, 1
	s_and_saveexec_b64 s[46:47], s[44:45]
	s_cbranch_execnz .LBB68_15
.LBB68_12:                              ;   in Loop: Header=BB68_9 Depth=3
	s_or_b64 exec, exec, s[46:47]
	s_andn2_b64 vcc, exec, s[24:25]
	s_cbranch_vccz .LBB68_16
	s_branch .LBB68_8
.LBB68_13:                              ;   in Loop: Header=BB68_9 Depth=3
	v_mul_hi_u32 v6, v19, v13
	v_ashrrev_i32_e32 v7, 31, v20
	v_mul_lo_u32 v8, v6, s65
	v_sub_u32_e32 v8, v19, v8
	v_subrev_u32_e32 v9, s65, v8
	v_cmp_le_u32_e32 vcc, s65, v8
	v_cndmask_b32_e32 v19, v8, v9, vcc
	v_subrev_u32_e32 v20, s65, v19
	v_cmp_le_u32_e32 vcc, s65, v19
	v_cndmask_b32_e32 v19, v19, v20, vcc
	v_xor_b32_e32 v19, v19, v7
	v_sub_u32_e32 v19, v19, v7
	v_cmp_ne_u32_e32 vcc, 0, v19
	s_and_b64 s[44:45], vcc, exec
                                        ; implicit-def: $vgpr19
	s_andn2_saveexec_b64 s[46:47], s[46:47]
	s_cbranch_execz .LBB68_11
.LBB68_14:                              ;   in Loop: Header=BB68_9 Depth=3
	v_mul_hi_u32 v6, v19, v13
	s_or_b64 s[44:45], s[44:45], exec
	v_mul_lo_u32 v8, v6, s65
	v_sub_u32_e32 v8, v19, v8
	v_subrev_u32_e32 v9, s65, v8
	s_or_b64 exec, exec, s[46:47]
	v_mov_b32_e32 v19, 1
	s_and_saveexec_b64 s[46:47], s[44:45]
	s_cbranch_execz .LBB68_12
.LBB68_15:                              ;   in Loop: Header=BB68_9 Depth=3
	v_mov_b32_e32 v19, 0
	s_or_b64 exec, exec, s[46:47]
	s_andn2_b64 vcc, exec, s[24:25]
	s_cbranch_vccnz .LBB68_8
.LBB68_16:                              ;   in Loop: Header=BB68_9 Depth=3
	v_add_u32_e32 v20, 1, v6
	v_cmp_le_u32_e32 vcc, s65, v8
	v_cndmask_b32_e32 v6, v6, v20, vcc
	v_cndmask_b32_e32 v8, v8, v9, vcc
	v_add_u32_e32 v9, 1, v6
	v_cmp_le_u32_e32 vcc, s65, v8
	v_xor_b32_e32 v7, s64, v7
	v_cndmask_b32_e32 v6, v6, v9, vcc
	v_xor_b32_e32 v6, v6, v7
	v_sub_u32_e32 v8, v6, v7
	v_ashrrev_i32_e32 v6, 31, v8
	v_mov_b32_e32 v7, s73
	v_add_co_u32_e32 v9, vcc, s74, v8
	v_addc_co_u32_e32 v6, vcc, v7, v6, vcc
	v_mul_lo_u32 v20, v6, s71
	v_mul_lo_u32 v21, v9, s55
	v_mad_u64_u32 v[6:7], s[44:45], v9, s71, 0
	v_cmp_gt_i32_e32 vcc, s70, v8
	s_mov_b32 s76, 0
	v_cndmask_b32_e32 v19, 0, v19, vcc
	v_add3_u32 v7, v7, v21, v20
	s_mov_b64 s[44:45], s[16:17]
	s_branch .LBB68_18
.LBB68_17:                              ;   in Loop: Header=BB68_18 Depth=4
	s_add_i32 s76, s76, 1
	s_add_u32 s44, s44, s14
	s_addc_u32 s45, s45, s15
	s_cmp_eq_u32 s76, s39
	s_cbranch_scc1 .LBB68_8
.LBB68_18:                              ;   Parent Loop BB68_3 Depth=1
                                        ;     Parent Loop BB68_6 Depth=2
                                        ;       Parent Loop BB68_9 Depth=3
                                        ; =>      This Loop Header: Depth=4
                                        ;           Child Loop BB68_25 Depth 5
	s_mul_i32 s46, s21, s76
	v_subrev_u32_e32 v8, s46, v17
	v_sub_u32_e32 v20, 0, v8
	v_cmp_gt_i32_e64 s[46:47], 0, v8
	v_cmp_lt_i32_e32 vcc, -1, v8
	v_ashrrev_i32_e32 v9, 31, v8
	v_max_i32_e32 v8, v8, v20
	s_and_saveexec_b64 s[48:49], vcc
	s_cbranch_execnz .LBB68_21
; %bb.19:                               ;   in Loop: Header=BB68_18 Depth=4
	s_or_b64 exec, exec, s[48:49]
	v_mov_b32_e32 v20, 1
	s_and_saveexec_b64 s[48:49], s[46:47]
	s_cbranch_execnz .LBB68_22
.LBB68_20:                              ;   in Loop: Header=BB68_18 Depth=4
	s_or_b64 exec, exec, s[48:49]
	s_andn2_b64 vcc, exec, s[34:35]
	s_cbranch_vccz .LBB68_23
	s_branch .LBB68_17
.LBB68_21:                              ;   in Loop: Header=BB68_18 Depth=4
	v_mul_hi_u32 v20, v8, v14
	s_andn2_b64 s[46:47], s[46:47], exec
	v_mul_lo_u32 v20, v20, s67
	v_sub_u32_e32 v20, v8, v20
	v_subrev_u32_e32 v21, s67, v20
	v_cmp_le_u32_e32 vcc, s67, v20
	v_cndmask_b32_e32 v20, v20, v21, vcc
	v_subrev_u32_e32 v21, s67, v20
	v_cmp_le_u32_e32 vcc, s67, v20
	v_cndmask_b32_e32 v20, v20, v21, vcc
	v_xor_b32_e32 v20, v20, v9
	v_sub_u32_e32 v20, v20, v9
	v_cmp_ne_u32_e32 vcc, 0, v20
	s_and_b64 s[50:51], vcc, exec
	s_or_b64 s[46:47], s[46:47], s[50:51]
	s_or_b64 exec, exec, s[48:49]
	v_mov_b32_e32 v20, 1
	s_and_saveexec_b64 s[48:49], s[46:47]
	s_cbranch_execz .LBB68_20
.LBB68_22:                              ;   in Loop: Header=BB68_18 Depth=4
	v_mov_b32_e32 v20, 0
	s_or_b64 exec, exec, s[48:49]
	s_andn2_b64 vcc, exec, s[34:35]
	s_cbranch_vccnz .LBB68_17
.LBB68_23:                              ;   in Loop: Header=BB68_18 Depth=4
	v_mul_hi_u32 v21, v8, v14
	v_xor_b32_e32 v9, s66, v9
	s_mov_b32 s77, s2
	v_mul_lo_u32 v22, v21, s67
	v_add_u32_e32 v23, 1, v21
	v_sub_u32_e32 v8, v8, v22
	v_cmp_le_u32_e32 vcc, s67, v8
	v_subrev_u32_e32 v22, s67, v8
	v_cndmask_b32_e32 v21, v21, v23, vcc
	v_cndmask_b32_e32 v8, v8, v22, vcc
	v_add_u32_e32 v22, 1, v21
	v_cmp_le_u32_e32 vcc, s67, v8
	v_cndmask_b32_e32 v8, v21, v22, vcc
	v_xor_b32_e32 v8, v8, v9
	v_sub_u32_e32 v21, v8, v9
	v_ashrrev_i32_e32 v8, 31, v21
	v_add_co_u32_e32 v9, vcc, v6, v21
	v_addc_co_u32_e32 v8, vcc, v7, v8, vcc
	v_mul_lo_u32 v22, v8, s72
	v_mul_lo_u32 v23, v9, s56
	v_mad_u64_u32 v[8:9], s[46:47], v9, s72, 0
	v_cmp_gt_i32_e32 vcc, s71, v21
	v_cndmask_b32_e32 v20, 0, v20, vcc
	v_add3_u32 v9, v9, v23, v22
	v_lshlrev_b64 v[8:9], 2, v[8:9]
	v_mov_b32_e32 v22, s58
	v_add_co_u32_e32 v21, vcc, s57, v8
	v_and_b32_e32 v20, v20, v19
	v_addc_co_u32_e32 v22, vcc, v22, v9, vcc
	s_mov_b64 s[46:47], s[44:45]
	v_mov_b32_e32 v23, v18
	s_branch .LBB68_25
.LBB68_24:                              ;   in Loop: Header=BB68_25 Depth=5
	s_or_b64 exec, exec, s[48:49]
	s_add_i32 s77, s77, -1
	s_add_u32 s46, s46, 4
	s_addc_u32 s47, s47, 0
	s_cmp_eq_u32 s77, 0
	v_subrev_u32_e32 v23, s22, v23
	s_cbranch_scc1 .LBB68_17
.LBB68_25:                              ;   Parent Loop BB68_3 Depth=1
                                        ;     Parent Loop BB68_6 Depth=2
                                        ;       Parent Loop BB68_9 Depth=3
                                        ;         Parent Loop BB68_18 Depth=4
                                        ; =>        This Inner Loop Header: Depth=5
	v_sub_u32_e32 v8, 0, v23
	v_cmp_lt_i32_e32 vcc, -1, v23
	s_mov_b64 s[48:49], 0
	v_ashrrev_i32_e32 v9, 31, v23
	v_max_i32_e32 v26, v23, v8
                                        ; implicit-def: $vgpr8
                                        ; implicit-def: $vgpr24
                                        ; implicit-def: $vgpr25
	s_and_saveexec_b64 s[50:51], vcc
	s_xor_b64 s[50:51], exec, s[50:51]
	s_cbranch_execnz .LBB68_31
; %bb.26:                               ;   in Loop: Header=BB68_25 Depth=5
	s_andn2_saveexec_b64 s[50:51], s[50:51]
	s_cbranch_execnz .LBB68_32
.LBB68_27:                              ;   in Loop: Header=BB68_25 Depth=5
	s_or_b64 exec, exec, s[50:51]
	v_mov_b32_e32 v26, 1
	s_and_saveexec_b64 s[50:51], s[48:49]
.LBB68_28:                              ;   in Loop: Header=BB68_25 Depth=5
	v_mov_b32_e32 v26, 0
.LBB68_29:                              ;   in Loop: Header=BB68_25 Depth=5
	s_or_b64 exec, exec, s[50:51]
	v_add_u32_e32 v27, 1, v8
	v_cmp_le_u32_e32 vcc, s69, v24
	v_cndmask_b32_e32 v8, v8, v27, vcc
	v_cndmask_b32_e32 v24, v24, v25, vcc
	v_add_u32_e32 v25, 1, v8
	v_cmp_le_u32_e32 vcc, s69, v24
	v_xor_b32_e32 v9, s68, v9
	v_cndmask_b32_e32 v8, v8, v25, vcc
	v_xor_b32_e32 v8, v8, v9
	v_sub_u32_e32 v8, v8, v9
	v_cmp_gt_i32_e32 vcc, s72, v8
	v_cndmask_b32_e32 v9, 0, v26, vcc
	v_and_b32_e32 v9, v20, v9
	v_and_b32_e32 v9, 1, v9
	v_cmp_eq_u32_e32 vcc, 1, v9
	s_and_saveexec_b64 s[48:49], vcc
	s_cbranch_execz .LBB68_24
; %bb.30:                               ;   in Loop: Header=BB68_25 Depth=5
	v_ashrrev_i32_e32 v9, 31, v8
	v_lshlrev_b64 v[8:9], 2, v[8:9]
	s_load_dword s50, s[46:47], 0x0
	v_add_co_u32_e32 v8, vcc, v21, v8
	v_addc_co_u32_e32 v9, vcc, v22, v9, vcc
	global_load_dword v8, v[8:9], off
	s_waitcnt lgkmcnt(0)
	v_cvt_f64_f32_e32 v[24:25], s50
	s_waitcnt vmcnt(0)
	v_cvt_f64_f32_e32 v[8:9], v8
	v_fma_f64 v[3:4], v[8:9], v[24:25], v[3:4]
	s_branch .LBB68_24
.LBB68_31:                              ;   in Loop: Header=BB68_25 Depth=5
	v_mul_hi_u32 v8, v26, v15
	v_ashrrev_i32_e32 v9, 31, v23
	v_mul_lo_u32 v24, v8, s69
	v_sub_u32_e32 v24, v26, v24
	v_subrev_u32_e32 v25, s69, v24
	v_cmp_le_u32_e32 vcc, s69, v24
	v_cndmask_b32_e32 v26, v24, v25, vcc
	v_subrev_u32_e32 v27, s69, v26
	v_cmp_le_u32_e32 vcc, s69, v26
	v_cndmask_b32_e32 v26, v26, v27, vcc
	v_xor_b32_e32 v26, v26, v9
	v_sub_u32_e32 v26, v26, v9
	v_cmp_ne_u32_e32 vcc, 0, v26
	s_and_b64 s[48:49], vcc, exec
                                        ; implicit-def: $vgpr26
	s_andn2_saveexec_b64 s[50:51], s[50:51]
	s_cbranch_execz .LBB68_27
.LBB68_32:                              ;   in Loop: Header=BB68_25 Depth=5
	v_mul_hi_u32 v8, v26, v15
	s_or_b64 s[48:49], s[48:49], exec
	v_mul_lo_u32 v24, v8, s69
	v_sub_u32_e32 v24, v26, v24
	v_subrev_u32_e32 v25, s69, v24
	s_or_b64 exec, exec, s[50:51]
	v_mov_b32_e32 v26, 1
	s_and_saveexec_b64 s[50:51], s[48:49]
	s_cbranch_execnz .LBB68_28
	s_branch .LBB68_29
.LBB68_33:                              ;   in Loop: Header=BB68_3 Depth=1
	v_mov_b32_e32 v3, 0
	v_mov_b32_e32 v4, 0
.LBB68_34:                              ;   in Loop: Header=BB68_3 Depth=1
	v_ashrrev_i32_e32 v6, 31, v5
	v_mad_i64_i32 v[5:6], s[0:1], v2, s13, v[5:6]
	v_ashrrev_i32_e32 v2, 31, v1
	v_lshlrev_b64 v[1:2], 2, v[1:2]
	v_mul_lo_u32 v7, v6, s10
	v_mul_lo_u32 v8, v5, s33
	v_mad_u64_u32 v[5:6], s[0:1], v5, s10, 0
	v_mov_b32_e32 v9, s53
	v_add3_u32 v6, v6, v8, v7
	v_lshlrev_b64 v[5:6], 2, v[5:6]
	v_add_co_u32_e32 v5, vcc, s52, v5
	v_addc_co_u32_e32 v6, vcc, v9, v6, vcc
	v_add_co_u32_e64 v1, s[0:1], v5, v1
	s_andn2_b64 vcc, exec, s[40:41]
	v_addc_co_u32_e64 v2, s[0:1], v6, v2, s[0:1]
	s_cbranch_vccnz .LBB68_2
; %bb.35:                               ;   in Loop: Header=BB68_3 Depth=1
	global_load_dword v5, v[1:2], off
	s_waitcnt vmcnt(0)
	v_cvt_f64_f32_e32 v[5:6], v5
	v_mul_f64 v[5:6], s[30:31], v[5:6]
	v_fma_f64 v[3:4], s[28:29], v[3:4], v[5:6]
	s_branch .LBB68_2
.LBB68_36:
	s_endpgm
	.section	.rodata,"a",@progbits
	.p2align	6, 0x0
	.amdhsa_kernel naive_conv_ab_packed_bwd_ncdhw_float_double_float
		.amdhsa_group_segment_fixed_size 0
		.amdhsa_private_segment_fixed_size 0
		.amdhsa_kernarg_size 528
		.amdhsa_user_sgpr_count 6
		.amdhsa_user_sgpr_private_segment_buffer 1
		.amdhsa_user_sgpr_dispatch_ptr 0
		.amdhsa_user_sgpr_queue_ptr 0
		.amdhsa_user_sgpr_kernarg_segment_ptr 1
		.amdhsa_user_sgpr_dispatch_id 0
		.amdhsa_user_sgpr_flat_scratch_init 0
		.amdhsa_user_sgpr_private_segment_size 0
		.amdhsa_uses_dynamic_stack 0
		.amdhsa_system_sgpr_private_segment_wavefront_offset 0
		.amdhsa_system_sgpr_workgroup_id_x 1
		.amdhsa_system_sgpr_workgroup_id_y 0
		.amdhsa_system_sgpr_workgroup_id_z 0
		.amdhsa_system_sgpr_workgroup_info 0
		.amdhsa_system_vgpr_workitem_id 0
		.amdhsa_next_free_vgpr 28
		.amdhsa_next_free_sgpr 78
		.amdhsa_reserve_vcc 1
		.amdhsa_reserve_flat_scratch 0
		.amdhsa_float_round_mode_32 0
		.amdhsa_float_round_mode_16_64 0
		.amdhsa_float_denorm_mode_32 3
		.amdhsa_float_denorm_mode_16_64 3
		.amdhsa_dx10_clamp 1
		.amdhsa_ieee_mode 1
		.amdhsa_fp16_overflow 0
		.amdhsa_exception_fp_ieee_invalid_op 0
		.amdhsa_exception_fp_denorm_src 0
		.amdhsa_exception_fp_ieee_div_zero 0
		.amdhsa_exception_fp_ieee_overflow 0
		.amdhsa_exception_fp_ieee_underflow 0
		.amdhsa_exception_fp_ieee_inexact 0
		.amdhsa_exception_int_div_zero 0
	.end_amdhsa_kernel
	.text
.Lfunc_end68:
	.size	naive_conv_ab_packed_bwd_ncdhw_float_double_float, .Lfunc_end68-naive_conv_ab_packed_bwd_ncdhw_float_double_float
                                        ; -- End function
	.set naive_conv_ab_packed_bwd_ncdhw_float_double_float.num_vgpr, 28
	.set naive_conv_ab_packed_bwd_ncdhw_float_double_float.num_agpr, 0
	.set naive_conv_ab_packed_bwd_ncdhw_float_double_float.numbered_sgpr, 78
	.set naive_conv_ab_packed_bwd_ncdhw_float_double_float.num_named_barrier, 0
	.set naive_conv_ab_packed_bwd_ncdhw_float_double_float.private_seg_size, 0
	.set naive_conv_ab_packed_bwd_ncdhw_float_double_float.uses_vcc, 1
	.set naive_conv_ab_packed_bwd_ncdhw_float_double_float.uses_flat_scratch, 0
	.set naive_conv_ab_packed_bwd_ncdhw_float_double_float.has_dyn_sized_stack, 0
	.set naive_conv_ab_packed_bwd_ncdhw_float_double_float.has_recursion, 0
	.set naive_conv_ab_packed_bwd_ncdhw_float_double_float.has_indirect_call, 0
	.section	.AMDGPU.csdata,"",@progbits
; Kernel info:
; codeLenInByte = 2672
; TotalNumSgprs: 82
; NumVgprs: 28
; ScratchSize: 0
; MemoryBound: 0
; FloatMode: 240
; IeeeMode: 1
; LDSByteSize: 0 bytes/workgroup (compile time only)
; SGPRBlocks: 10
; VGPRBlocks: 6
; NumSGPRsForWavesPerEU: 82
; NumVGPRsForWavesPerEU: 28
; Occupancy: 9
; WaveLimiterHint : 1
; COMPUTE_PGM_RSRC2:SCRATCH_EN: 0
; COMPUTE_PGM_RSRC2:USER_SGPR: 6
; COMPUTE_PGM_RSRC2:TRAP_HANDLER: 0
; COMPUTE_PGM_RSRC2:TGID_X_EN: 1
; COMPUTE_PGM_RSRC2:TGID_Y_EN: 0
; COMPUTE_PGM_RSRC2:TGID_Z_EN: 0
; COMPUTE_PGM_RSRC2:TIDIG_COMP_CNT: 0
	.text
	.protected	naive_conv_ab_nonpacked_bwd_ncdhw_float_double_float ; -- Begin function naive_conv_ab_nonpacked_bwd_ncdhw_float_double_float
	.globl	naive_conv_ab_nonpacked_bwd_ncdhw_float_double_float
	.p2align	8
	.type	naive_conv_ab_nonpacked_bwd_ncdhw_float_double_float,@function
naive_conv_ab_nonpacked_bwd_ncdhw_float_double_float: ; @naive_conv_ab_nonpacked_bwd_ncdhw_float_double_float
; %bb.0:
	s_load_dwordx16 s[8:23], s[4:5], 0xb8
	s_abs_i32 s2, s6
	s_waitcnt lgkmcnt(0)
	s_abs_i32 s0, s13
	v_cvt_f32_u32_e32 v1, s0
	s_sub_i32 s1, 0, s0
	s_mul_i32 s33, s13, s11
	s_mul_i32 s68, s10, s9
	v_rcp_iflag_f32_e32 v1, v1
	v_mul_f32_e32 v1, 0x4f7ffffe, v1
	v_cvt_u32_f32_e32 v1, v1
	v_readfirstlane_b32 s3, v1
	s_mul_i32 s1, s1, s3
	s_mul_hi_u32 s1, s3, s1
	s_add_i32 s3, s3, s1
	s_mul_hi_u32 s1, s2, s3
	s_mul_i32 s3, s1, s0
	s_sub_i32 s3, s2, s3
	s_add_i32 s7, s1, 1
	s_sub_i32 s24, s3, s0
	s_cmp_ge_u32 s3, s0
	s_cselect_b32 s1, s7, s1
	s_cselect_b32 s3, s24, s3
	s_add_i32 s7, s1, 1
	s_cmp_ge_u32 s3, s0
	s_cselect_b32 s34, s7, s1
	s_abs_i32 s7, s11
	s_abs_i32 s3, s33
	v_cvt_f32_u32_e32 v1, s7
	v_cvt_f32_u32_e32 v2, s3
	s_mul_i32 s11, s68, s8
	v_cmp_gt_i32_e32 vcc, s11, v0
	v_rcp_iflag_f32_e32 v1, v1
	v_rcp_iflag_f32_e32 v2, v2
	v_mul_f32_e32 v1, 0x4f7ffffe, v1
	v_mul_f32_e32 v2, 0x4f7ffffe, v2
	v_cvt_u32_f32_e32 v1, v1
	v_cvt_u32_f32_e32 v2, v2
	v_readfirstlane_b32 s35, v1
	v_readfirstlane_b32 s8, v2
	s_and_saveexec_b64 s[0:1], vcc
	s_cbranch_execz .LBB69_36
; %bb.1:
	s_ashr_i32 s52, s6, 31
	s_ashr_i32 s36, s13, 31
	s_xor_b32 s36, s52, s36
	s_xor_b32 s34, s34, s36
	s_sub_i32 s34, s34, s36
	s_sub_i32 s36, 0, s7
	s_mul_i32 s36, s36, s35
	s_mul_hi_u32 s36, s35, s36
	s_abs_i32 s54, s34
	s_add_i32 s35, s35, s36
	s_mul_hi_u32 s35, s54, s35
	s_sub_i32 s36, 0, s3
	s_ashr_i32 s53, s34, 31
	s_mul_i32 s36, s36, s8
	s_mul_i32 s34, s34, s13
	;; [unrolled: 1-line block ×3, first 2 shown]
	s_mul_hi_u32 s36, s8, s36
	s_sub_i32 s69, s6, s34
	s_sub_i32 s6, s54, s35
	s_ashr_i32 s33, s33, 31
	s_add_i32 s8, s8, s36
	s_sub_i32 s13, s6, s7
	s_cmp_ge_u32 s6, s7
	s_cselect_b32 s6, s13, s6
	s_sub_i32 s13, s6, s7
	s_mul_hi_u32 s8, s2, s8
	s_cmp_ge_u32 s6, s7
	s_cselect_b32 s6, s13, s6
	s_mul_i32 s7, s8, s3
	s_xor_b32 s6, s6, s53
	s_sub_i32 s2, s2, s7
	s_sub_i32 s56, s6, s53
	s_xor_b32 s6, s52, s33
	s_add_i32 s7, s8, 1
	s_sub_i32 s13, s2, s3
	s_cmp_ge_u32 s2, s3
	s_cselect_b32 s7, s7, s8
	s_load_dwordx16 s[36:51], s[4:5], 0x28
	s_cselect_b32 s2, s13, s2
	s_add_i32 s8, s7, 1
	s_cmp_ge_u32 s2, s3
	s_cselect_b32 s2, s8, s7
	s_xor_b32 s2, s2, s6
	s_sub_i32 s8, s2, s6
	s_ashr_i32 s57, s56, 31
	s_load_dwordx8 s[24:31], s[4:5], 0x0
	s_load_dwordx2 s[0:1], s[4:5], 0x20
	s_waitcnt lgkmcnt(0)
	s_mul_i32 s2, s46, s57
	s_mul_hi_u32 s3, s46, s56
	s_ashr_i32 s73, s8, 31
	s_ashr_i32 s74, s69, 31
	s_add_i32 s2, s3, s2
	s_mul_i32 s3, s47, s56
	s_mul_i32 s6, s44, s73
	s_mul_hi_u32 s7, s44, s8
	s_mul_i32 s13, s42, s74
	s_mul_hi_u32 s33, s42, s69
	s_add_i32 s3, s2, s3
	s_mul_i32 s2, s46, s56
	s_add_i32 s6, s7, s6
	s_mul_i32 s7, s45, s8
	;; [unrolled: 2-line block ×3, first 2 shown]
	s_add_i32 s7, s6, s7
	s_add_i32 s35, s13, s33
	s_lshl_b64 s[2:3], s[2:3], 2
	s_mul_i32 s6, s44, s8
	s_add_u32 s13, s24, s2
	s_load_dwordx4 s[52:55], s[4:5], 0xa8
	s_load_dwordx4 s[44:47], s[4:5], 0xf8
	s_addc_u32 s24, s25, s3
	s_lshl_b64 s[2:3], s[6:7], 2
	s_add_u32 s6, s13, s2
	s_mul_i32 s34, s42, s69
	s_addc_u32 s7, s24, s3
	s_lshl_b64 s[2:3], s[34:35], 2
	s_add_u32 s13, s6, s2
	s_addc_u32 s33, s7, s3
	s_waitcnt lgkmcnt(0)
	s_mul_i32 s2, s54, s57
	s_mul_hi_u32 s3, s54, s56
	s_add_i32 s2, s3, s2
	s_mul_i32 s3, s55, s56
	s_mul_i32 s6, s52, s73
	s_mul_hi_u32 s7, s52, s8
	s_add_i32 s3, s2, s3
	s_mul_i32 s2, s54, s56
	s_add_i32 s6, s7, s6
	s_mul_i32 s7, s53, s8
	s_add_i32 s7, s6, s7
	s_lshl_b64 s[2:3], s[2:3], 2
	s_mul_i32 s6, s52, s8
	s_add_u32 s2, s0, s2
	s_addc_u32 s3, s1, s3
	s_lshl_b64 s[0:1], s[6:7], 2
	s_load_dword s70, s[4:5], 0x108
	s_load_dword s75, s[4:5], 0x11c
	s_add_u32 s71, s2, s0
	s_addc_u32 s72, s3, s1
	s_load_dwordx16 s[52:67], s[4:5], 0x68
	s_cmp_gt_i32 s12, 0
	s_cselect_b64 s[2:3], -1, 0
	s_cmp_gt_i32 s46, 0
	s_cselect_b64 s[6:7], -1, 0
	;; [unrolled: 2-line block ×3, first 2 shown]
	s_waitcnt lgkmcnt(0)
	s_cmp_gt_i32 s70, 0
	s_cselect_b64 s[34:35], -1, 0
	s_mul_i32 s4, s58, s73
	s_and_b32 s73, s75, 0xffff
	s_abs_i32 s75, s68
	v_cvt_f32_u32_e32 v5, s75
	s_ashr_i32 s79, s17, 31
	s_abs_i32 s17, s17
	s_abs_i32 s81, s18
	v_rcp_iflag_f32_e32 v5, v5
	s_abs_i32 s77, s10
	s_abs_i32 s78, s9
	v_cvt_f32_u32_e32 v1, s77
	v_mul_f32_e32 v5, 0x4f7ffffe, v5
	v_cvt_u32_f32_e32 v7, v5
	v_cvt_f32_u32_e32 v5, s17
	v_cvt_f32_u32_e32 v3, s78
	s_abs_i32 s83, s19
	v_rcp_iflag_f32_e32 v1, v1
	v_rcp_iflag_f32_e32 v5, v5
	;; [unrolled: 1-line block ×3, first 2 shown]
	v_cmp_neq_f64_e64 s[0:1], s[28:29], 1.0
	v_cmp_neq_f64_e64 s[42:43], s[30:31], 0
	v_mul_f32_e32 v5, 0x4f7ffffe, v5
	v_cvt_u32_f32_e32 v9, v5
	v_cvt_f32_u32_e32 v5, s81
	v_mul_f32_e32 v1, 0x4f7ffffe, v1
	v_mul_f32_e32 v3, 0x4f7ffffe, v3
	v_cvt_u32_f32_e32 v1, v1
	v_rcp_iflag_f32_e32 v5, v5
	v_cvt_u32_f32_e32 v3, v3
	s_mul_hi_u32 s5, s58, s8
	s_add_i32 s4, s5, s4
	v_mul_f32_e32 v5, 0x4f7ffffe, v5
	v_cvt_u32_f32_e32 v11, v5
	v_cvt_f32_u32_e32 v5, s83
	s_mul_i32 s5, s59, s8
	s_add_i32 s5, s4, s5
	s_mul_i32 s4, s58, s8
	v_rcp_iflag_f32_e32 v5, v5
	s_sub_i32 s8, 0, s77
	s_sub_i32 s9, 0, s78
	v_mul_lo_u32 v2, s8, v1
	v_mul_f32_e32 v5, 0x4f7ffffe, v5
	v_mul_lo_u32 v4, s9, v3
	v_cvt_u32_f32_e32 v13, v5
	s_or_b64 s[42:43], s[0:1], s[42:43]
	s_mul_i32 s0, s54, s74
	s_mul_hi_u32 s1, s54, s69
	s_add_i32 s0, s1, s0
	s_mul_i32 s1, s55, s69
	s_add_i32 s1, s0, s1
	s_mul_i32 s0, s54, s69
	s_sub_i32 s54, 0, s75
	s_sub_i32 s55, 0, s17
	s_ashr_i32 s80, s18, 31
	s_sub_i32 s18, 0, s81
	s_ashr_i32 s82, s19, 31
	s_sub_i32 s19, 0, s83
	v_mul_lo_u32 v8, s54, v7
	v_mul_lo_u32 v10, s55, v9
	;; [unrolled: 1-line block ×4, first 2 shown]
	v_mul_hi_u32 v2, v1, v2
	v_mul_hi_u32 v4, v3, v4
	s_ashr_i32 s74, s68, 31
	s_lshl_b64 s[0:1], s[0:1], 2
	s_lshl_b64 s[4:5], s[4:5], 2
	s_ashr_i32 s76, s10, 31
	v_add_u32_e32 v5, v1, v2
	v_add_u32_e32 v6, v3, v4
	v_mul_hi_u32 v1, v7, v8
	v_mul_hi_u32 v2, v9, v10
	;; [unrolled: 1-line block ×4, first 2 shown]
	s_add_u32 s0, s0, s4
	s_addc_u32 s1, s1, s5
	s_add_u32 s4, s26, s0
	s_addc_u32 s5, s27, s1
	v_add_u32_e32 v7, v7, v1
	v_add_u32_e32 v8, v9, v2
	;; [unrolled: 1-line block ×4, first 2 shown]
	s_mov_b64 s[8:9], 0
	s_lshl_b64 s[18:19], s[56:57], 2
	s_lshl_b64 s[26:27], s[52:53], 2
	;; [unrolled: 1-line block ×4, first 2 shown]
	s_branch .LBB69_3
.LBB69_2:                               ;   in Loop: Header=BB69_3 Depth=1
	v_cvt_f32_f64_e32 v1, v[1:2]
	v_add_u32_e32 v0, s73, v0
	v_cmp_le_i32_e32 vcc, s11, v0
	s_or_b64 s[8:9], vcc, s[8:9]
	global_store_dword v[3:4], v1, off
	s_andn2_b64 exec, exec, s[8:9]
	s_cbranch_execz .LBB69_36
.LBB69_3:                               ; =>This Loop Header: Depth=1
                                        ;     Child Loop BB69_6 Depth 2
                                        ;       Child Loop BB69_9 Depth 3
                                        ;         Child Loop BB69_18 Depth 4
                                        ;           Child Loop BB69_25 Depth 5
	v_sub_u32_e32 v1, 0, v0
	v_max_i32_e32 v1, v0, v1
	v_mul_hi_u32 v2, v1, v5
	v_ashrrev_i32_e32 v11, 31, v0
	v_xor_b32_e32 v4, s76, v11
	v_mul_hi_u32 v14, v1, v7
	v_mul_lo_u32 v3, v2, s77
	v_add_u32_e32 v12, 1, v2
	v_sub_u32_e32 v3, v1, v3
	v_cmp_le_u32_e32 vcc, s77, v3
	v_cndmask_b32_e32 v2, v2, v12, vcc
	v_subrev_u32_e32 v12, s77, v3
	v_cndmask_b32_e32 v3, v3, v12, vcc
	v_add_u32_e32 v12, 1, v2
	v_cmp_le_u32_e32 vcc, s77, v3
	v_cndmask_b32_e32 v2, v2, v12, vcc
	v_xor_b32_e32 v2, v2, v4
	v_sub_u32_e32 v2, v2, v4
	v_sub_u32_e32 v3, 0, v2
	v_max_i32_e32 v4, v2, v3
	v_mul_hi_u32 v3, v4, v6
	v_mul_lo_u32 v12, v2, s10
	v_ashrrev_i32_e32 v2, 31, v2
	v_mul_lo_u32 v13, v3, s78
	v_sub_u32_e32 v3, v0, v12
	v_sub_u32_e32 v4, v4, v13
	v_subrev_u32_e32 v12, s78, v4
	v_cmp_le_u32_e32 vcc, s78, v4
	v_cndmask_b32_e32 v4, v4, v12, vcc
	v_subrev_u32_e32 v12, s78, v4
	v_cmp_le_u32_e32 vcc, s78, v4
	v_cndmask_b32_e32 v4, v4, v12, vcc
	v_mul_lo_u32 v12, v14, s75
	v_xor_b32_e32 v4, v4, v2
	v_sub_u32_e32 v4, v4, v2
	v_xor_b32_e32 v2, s74, v11
	v_sub_u32_e32 v1, v1, v12
	v_add_u32_e32 v11, 1, v14
	v_cmp_le_u32_e32 vcc, s75, v1
	v_subrev_u32_e32 v12, s75, v1
	v_cndmask_b32_e32 v11, v14, v11, vcc
	v_cndmask_b32_e32 v1, v1, v12, vcc
	v_add_u32_e32 v12, 1, v11
	v_cmp_le_u32_e32 vcc, s75, v1
	v_cndmask_b32_e32 v1, v11, v12, vcc
	v_xor_b32_e32 v1, v1, v2
	s_andn2_b64 vcc, exec, s[2:3]
	v_sub_u32_e32 v11, v1, v2
	s_cbranch_vccnz .LBB69_33
; %bb.4:                                ;   in Loop: Header=BB69_3 Depth=1
	v_mov_b32_e32 v1, 0
	v_add_u32_e32 v12, s23, v11
	v_add_u32_e32 v13, s44, v4
	;; [unrolled: 1-line block ×3, first 2 shown]
	v_mov_b32_e32 v2, 0
	s_mov_b32 s84, 0
	s_mov_b64 s[0:1], s[4:5]
	s_branch .LBB69_6
.LBB69_5:                               ;   in Loop: Header=BB69_6 Depth=2
	s_add_i32 s84, s84, 1
	s_add_u32 s0, s0, s18
	s_addc_u32 s1, s1, s19
	s_cmp_eq_u32 s84, s12
	s_cbranch_scc1 .LBB69_34
.LBB69_6:                               ;   Parent Loop BB69_3 Depth=1
                                        ; =>  This Loop Header: Depth=2
                                        ;       Child Loop BB69_9 Depth 3
                                        ;         Child Loop BB69_18 Depth 4
                                        ;           Child Loop BB69_25 Depth 5
	s_andn2_b64 vcc, exec, s[6:7]
	s_cbranch_vccnz .LBB69_5
; %bb.7:                                ;   in Loop: Header=BB69_6 Depth=2
	s_mul_i32 s52, s67, s84
	s_mul_hi_u32 s53, s66, s84
	s_add_i32 s53, s53, s52
	s_mul_i32 s52, s66, s84
	s_lshl_b64 s[52:53], s[52:53], 2
	s_add_u32 s85, s71, s52
	s_addc_u32 s86, s72, s53
	s_mov_b32 s87, 0
	s_mov_b64 s[52:53], s[0:1]
	s_branch .LBB69_9
.LBB69_8:                               ;   in Loop: Header=BB69_9 Depth=3
	s_add_i32 s87, s87, 1
	s_add_u32 s52, s52, s26
	s_addc_u32 s53, s53, s27
	s_cmp_eq_u32 s87, s46
	s_cbranch_scc1 .LBB69_5
.LBB69_9:                               ;   Parent Loop BB69_3 Depth=1
                                        ;     Parent Loop BB69_6 Depth=2
                                        ; =>    This Loop Header: Depth=3
                                        ;         Child Loop BB69_18 Depth 4
                                        ;           Child Loop BB69_25 Depth 5
	s_mul_i32 s54, s20, s87
	v_subrev_u32_e32 v20, s54, v12
	v_sub_u32_e32 v15, 0, v20
	v_cmp_lt_i32_e32 vcc, -1, v20
	s_mov_b64 s[54:55], 0
	v_ashrrev_i32_e32 v16, 31, v20
	v_max_i32_e32 v19, v20, v15
                                        ; implicit-def: $vgpr15
                                        ; implicit-def: $vgpr17
                                        ; implicit-def: $vgpr18
	s_and_saveexec_b64 s[56:57], vcc
	s_xor_b64 s[56:57], exec, s[56:57]
	s_cbranch_execnz .LBB69_13
; %bb.10:                               ;   in Loop: Header=BB69_9 Depth=3
	s_andn2_saveexec_b64 s[56:57], s[56:57]
	s_cbranch_execnz .LBB69_14
.LBB69_11:                              ;   in Loop: Header=BB69_9 Depth=3
	s_or_b64 exec, exec, s[56:57]
	v_mov_b32_e32 v19, 1
	s_and_saveexec_b64 s[56:57], s[54:55]
	s_cbranch_execnz .LBB69_15
.LBB69_12:                              ;   in Loop: Header=BB69_9 Depth=3
	s_or_b64 exec, exec, s[56:57]
	s_andn2_b64 vcc, exec, s[24:25]
	s_cbranch_vccz .LBB69_16
	s_branch .LBB69_8
.LBB69_13:                              ;   in Loop: Header=BB69_9 Depth=3
	v_mul_hi_u32 v15, v19, v8
	v_ashrrev_i32_e32 v16, 31, v20
	v_mul_lo_u32 v17, v15, s17
	v_sub_u32_e32 v17, v19, v17
	v_subrev_u32_e32 v18, s17, v17
	v_cmp_le_u32_e32 vcc, s17, v17
	v_cndmask_b32_e32 v19, v17, v18, vcc
	v_subrev_u32_e32 v20, s17, v19
	v_cmp_le_u32_e32 vcc, s17, v19
	v_cndmask_b32_e32 v19, v19, v20, vcc
	v_xor_b32_e32 v19, v19, v16
	v_sub_u32_e32 v19, v19, v16
	v_cmp_ne_u32_e32 vcc, 0, v19
	s_and_b64 s[54:55], vcc, exec
                                        ; implicit-def: $vgpr19
	s_andn2_saveexec_b64 s[56:57], s[56:57]
	s_cbranch_execz .LBB69_11
.LBB69_14:                              ;   in Loop: Header=BB69_9 Depth=3
	v_mul_hi_u32 v15, v19, v8
	s_or_b64 s[54:55], s[54:55], exec
	v_mul_lo_u32 v17, v15, s17
	v_sub_u32_e32 v17, v19, v17
	v_subrev_u32_e32 v18, s17, v17
	s_or_b64 exec, exec, s[56:57]
	v_mov_b32_e32 v19, 1
	s_and_saveexec_b64 s[56:57], s[54:55]
	s_cbranch_execz .LBB69_12
.LBB69_15:                              ;   in Loop: Header=BB69_9 Depth=3
	v_mov_b32_e32 v19, 0
	s_or_b64 exec, exec, s[56:57]
	s_andn2_b64 vcc, exec, s[24:25]
	s_cbranch_vccnz .LBB69_8
.LBB69_16:                              ;   in Loop: Header=BB69_9 Depth=3
	v_add_u32_e32 v20, 1, v15
	v_cmp_le_u32_e32 vcc, s17, v17
	v_cndmask_b32_e32 v15, v15, v20, vcc
	v_cndmask_b32_e32 v17, v17, v18, vcc
	v_add_u32_e32 v18, 1, v15
	v_cmp_le_u32_e32 vcc, s17, v17
	v_xor_b32_e32 v16, s79, v16
	v_cndmask_b32_e32 v15, v15, v18, vcc
	v_xor_b32_e32 v15, v15, v16
	v_sub_u32_e32 v15, v15, v16
	v_ashrrev_i32_e32 v16, 31, v15
	v_mul_lo_u32 v18, s64, v16
	v_mul_lo_u32 v20, s65, v15
	v_mad_u64_u32 v[16:17], s[54:55], s64, v15, 0
	v_cmp_gt_i32_e32 vcc, s14, v15
	v_cndmask_b32_e32 v15, 0, v19, vcc
	v_add3_u32 v17, v17, v18, v20
	v_lshlrev_b64 v[16:17], 2, v[16:17]
	v_mov_b32_e32 v18, s86
	v_add_co_u32_e32 v16, vcc, s85, v16
	s_mov_b32 s88, 0
	v_addc_co_u32_e32 v17, vcc, v18, v17, vcc
	s_mov_b64 s[54:55], s[52:53]
	s_branch .LBB69_18
.LBB69_17:                              ;   in Loop: Header=BB69_18 Depth=4
	s_add_i32 s88, s88, 1
	s_add_u32 s54, s54, s50
	s_addc_u32 s55, s55, s51
	s_cmp_eq_u32 s88, s47
	s_cbranch_scc1 .LBB69_8
.LBB69_18:                              ;   Parent Loop BB69_3 Depth=1
                                        ;     Parent Loop BB69_6 Depth=2
                                        ;       Parent Loop BB69_9 Depth=3
                                        ; =>      This Loop Header: Depth=4
                                        ;           Child Loop BB69_25 Depth 5
	s_mul_i32 s56, s21, s88
	v_subrev_u32_e32 v18, s56, v13
	v_sub_u32_e32 v20, 0, v18
	v_cmp_gt_i32_e64 s[56:57], 0, v18
	v_cmp_lt_i32_e32 vcc, -1, v18
	v_ashrrev_i32_e32 v19, 31, v18
	v_max_i32_e32 v18, v18, v20
	s_and_saveexec_b64 s[58:59], vcc
	s_cbranch_execnz .LBB69_21
; %bb.19:                               ;   in Loop: Header=BB69_18 Depth=4
	s_or_b64 exec, exec, s[58:59]
	v_mov_b32_e32 v20, 1
	s_and_saveexec_b64 s[58:59], s[56:57]
	s_cbranch_execnz .LBB69_22
.LBB69_20:                              ;   in Loop: Header=BB69_18 Depth=4
	s_or_b64 exec, exec, s[58:59]
	s_andn2_b64 vcc, exec, s[34:35]
	s_cbranch_vccz .LBB69_23
	s_branch .LBB69_17
.LBB69_21:                              ;   in Loop: Header=BB69_18 Depth=4
	v_mul_hi_u32 v20, v18, v9
	s_andn2_b64 s[56:57], s[56:57], exec
	v_mul_lo_u32 v20, v20, s81
	v_sub_u32_e32 v20, v18, v20
	v_subrev_u32_e32 v21, s81, v20
	v_cmp_le_u32_e32 vcc, s81, v20
	v_cndmask_b32_e32 v20, v20, v21, vcc
	v_subrev_u32_e32 v21, s81, v20
	v_cmp_le_u32_e32 vcc, s81, v20
	v_cndmask_b32_e32 v20, v20, v21, vcc
	v_xor_b32_e32 v20, v20, v19
	v_sub_u32_e32 v20, v20, v19
	v_cmp_ne_u32_e32 vcc, 0, v20
	s_and_b64 s[68:69], vcc, exec
	s_or_b64 s[56:57], s[56:57], s[68:69]
	s_or_b64 exec, exec, s[58:59]
	v_mov_b32_e32 v20, 1
	s_and_saveexec_b64 s[58:59], s[56:57]
	s_cbranch_execz .LBB69_20
.LBB69_22:                              ;   in Loop: Header=BB69_18 Depth=4
	v_mov_b32_e32 v20, 0
	s_or_b64 exec, exec, s[58:59]
	s_andn2_b64 vcc, exec, s[34:35]
	s_cbranch_vccnz .LBB69_17
.LBB69_23:                              ;   in Loop: Header=BB69_18 Depth=4
	v_mul_hi_u32 v21, v18, v9
	v_xor_b32_e32 v19, s80, v19
	s_mov_b32 s89, s70
	v_mul_lo_u32 v22, v21, s81
	v_add_u32_e32 v23, 1, v21
	v_sub_u32_e32 v18, v18, v22
	v_cmp_le_u32_e32 vcc, s81, v18
	v_subrev_u32_e32 v22, s81, v18
	v_cndmask_b32_e32 v21, v21, v23, vcc
	v_cndmask_b32_e32 v18, v18, v22, vcc
	v_add_u32_e32 v22, 1, v21
	v_cmp_le_u32_e32 vcc, s81, v18
	v_cndmask_b32_e32 v18, v21, v22, vcc
	v_xor_b32_e32 v18, v18, v19
	v_sub_u32_e32 v18, v18, v19
	v_ashrrev_i32_e32 v19, 31, v18
	v_mul_lo_u32 v19, s62, v19
	v_mul_lo_u32 v23, s63, v18
	v_mad_u64_u32 v[21:22], s[56:57], s62, v18, 0
	v_cmp_gt_i32_e32 vcc, s15, v18
	v_cndmask_b32_e32 v18, 0, v20, vcc
	v_add3_u32 v22, v22, v19, v23
	v_lshlrev_b64 v[19:20], 2, v[21:22]
	v_and_b32_e32 v18, v18, v15
	v_add_co_u32_e32 v19, vcc, v16, v19
	v_addc_co_u32_e32 v20, vcc, v17, v20, vcc
	s_mov_b64 s[56:57], s[54:55]
	v_mov_b32_e32 v21, v14
	s_branch .LBB69_25
.LBB69_24:                              ;   in Loop: Header=BB69_25 Depth=5
	s_or_b64 exec, exec, s[58:59]
	s_add_i32 s89, s89, -1
	s_add_u32 s56, s56, s48
	s_addc_u32 s57, s57, s49
	s_cmp_eq_u32 s89, 0
	v_subrev_u32_e32 v21, s22, v21
	s_cbranch_scc1 .LBB69_17
.LBB69_25:                              ;   Parent Loop BB69_3 Depth=1
                                        ;     Parent Loop BB69_6 Depth=2
                                        ;       Parent Loop BB69_9 Depth=3
                                        ;         Parent Loop BB69_18 Depth=4
                                        ; =>        This Inner Loop Header: Depth=5
	v_sub_u32_e32 v22, 0, v21
	v_cmp_lt_i32_e32 vcc, -1, v21
	s_mov_b64 s[58:59], 0
	v_ashrrev_i32_e32 v23, 31, v21
	v_max_i32_e32 v26, v21, v22
                                        ; implicit-def: $vgpr22
                                        ; implicit-def: $vgpr24
                                        ; implicit-def: $vgpr25
	s_and_saveexec_b64 s[68:69], vcc
	s_xor_b64 s[68:69], exec, s[68:69]
	s_cbranch_execnz .LBB69_31
; %bb.26:                               ;   in Loop: Header=BB69_25 Depth=5
	s_andn2_saveexec_b64 s[68:69], s[68:69]
	s_cbranch_execnz .LBB69_32
.LBB69_27:                              ;   in Loop: Header=BB69_25 Depth=5
	s_or_b64 exec, exec, s[68:69]
	v_mov_b32_e32 v26, 1
	s_and_saveexec_b64 s[68:69], s[58:59]
.LBB69_28:                              ;   in Loop: Header=BB69_25 Depth=5
	v_mov_b32_e32 v26, 0
.LBB69_29:                              ;   in Loop: Header=BB69_25 Depth=5
	s_or_b64 exec, exec, s[68:69]
	v_add_u32_e32 v27, 1, v22
	v_cmp_le_u32_e32 vcc, s83, v24
	v_cndmask_b32_e32 v22, v22, v27, vcc
	v_cndmask_b32_e32 v24, v24, v25, vcc
	v_add_u32_e32 v25, 1, v22
	v_cmp_le_u32_e32 vcc, s83, v24
	v_xor_b32_e32 v23, s82, v23
	v_cndmask_b32_e32 v22, v22, v25, vcc
	v_xor_b32_e32 v22, v22, v23
	v_sub_u32_e32 v22, v22, v23
	v_cmp_gt_i32_e32 vcc, s16, v22
	v_cndmask_b32_e32 v23, 0, v26, vcc
	v_and_b32_e32 v23, v18, v23
	v_and_b32_e32 v23, 1, v23
	v_cmp_eq_u32_e32 vcc, 1, v23
	s_and_saveexec_b64 s[58:59], vcc
	s_cbranch_execz .LBB69_24
; %bb.30:                               ;   in Loop: Header=BB69_25 Depth=5
	v_ashrrev_i32_e32 v24, 31, v22
	v_mul_lo_u32 v25, s61, v22
	v_mad_u64_u32 v[22:23], s[68:69], s60, v22, 0
	v_mul_lo_u32 v24, s60, v24
	s_load_dword s68, s[56:57], 0x0
	v_add3_u32 v23, v23, v24, v25
	v_lshlrev_b64 v[22:23], 2, v[22:23]
	s_waitcnt lgkmcnt(0)
	v_cvt_f64_f32_e32 v[24:25], s68
	v_add_co_u32_e32 v22, vcc, v19, v22
	v_addc_co_u32_e32 v23, vcc, v20, v23, vcc
	global_load_dword v22, v[22:23], off
	s_waitcnt vmcnt(0)
	v_cvt_f64_f32_e32 v[22:23], v22
	v_fma_f64 v[1:2], v[22:23], v[24:25], v[1:2]
	s_branch .LBB69_24
.LBB69_31:                              ;   in Loop: Header=BB69_25 Depth=5
	v_mul_hi_u32 v22, v26, v10
	v_ashrrev_i32_e32 v23, 31, v21
	v_mul_lo_u32 v24, v22, s83
	v_sub_u32_e32 v24, v26, v24
	v_subrev_u32_e32 v25, s83, v24
	v_cmp_le_u32_e32 vcc, s83, v24
	v_cndmask_b32_e32 v26, v24, v25, vcc
	v_subrev_u32_e32 v27, s83, v26
	v_cmp_le_u32_e32 vcc, s83, v26
	v_cndmask_b32_e32 v26, v26, v27, vcc
	v_xor_b32_e32 v26, v26, v23
	v_sub_u32_e32 v26, v26, v23
	v_cmp_ne_u32_e32 vcc, 0, v26
	s_and_b64 s[58:59], vcc, exec
                                        ; implicit-def: $vgpr26
	s_andn2_saveexec_b64 s[68:69], s[68:69]
	s_cbranch_execz .LBB69_27
.LBB69_32:                              ;   in Loop: Header=BB69_25 Depth=5
	v_mul_hi_u32 v22, v26, v10
	s_or_b64 s[58:59], s[58:59], exec
	v_mul_lo_u32 v24, v22, s83
	v_sub_u32_e32 v24, v26, v24
	v_subrev_u32_e32 v25, s83, v24
	s_or_b64 exec, exec, s[68:69]
	v_mov_b32_e32 v26, 1
	s_and_saveexec_b64 s[68:69], s[58:59]
	s_cbranch_execnz .LBB69_28
	s_branch .LBB69_29
.LBB69_33:                              ;   in Loop: Header=BB69_3 Depth=1
	v_mov_b32_e32 v1, 0
	v_mov_b32_e32 v2, 0
.LBB69_34:                              ;   in Loop: Header=BB69_3 Depth=1
	v_ashrrev_i32_e32 v12, 31, v11
	v_mul_lo_u32 v15, s41, v11
	v_mul_lo_u32 v16, s40, v12
	v_mad_u64_u32 v[11:12], s[0:1], s40, v11, 0
	v_ashrrev_i32_e32 v13, 31, v4
	v_mul_lo_u32 v17, s39, v4
	v_mul_lo_u32 v18, s38, v13
	v_mad_u64_u32 v[13:14], s[0:1], s38, v4, 0
	;; [unrolled: 4-line block ×3, first 2 shown]
	v_add3_u32 v12, v12, v16, v15
	v_lshlrev_b64 v[11:12], 2, v[11:12]
	v_add3_u32 v14, v14, v18, v17
	v_mov_b32_e32 v15, s33
	v_add_co_u32_e32 v16, vcc, s13, v11
	v_add3_u32 v4, v4, v20, v19
	v_addc_co_u32_e32 v15, vcc, v15, v12, vcc
	v_lshlrev_b64 v[11:12], 2, v[13:14]
	v_lshlrev_b64 v[3:4], 2, v[3:4]
	v_add_co_u32_e32 v11, vcc, v16, v11
	v_addc_co_u32_e32 v12, vcc, v15, v12, vcc
	v_add_co_u32_e64 v3, s[0:1], v11, v3
	s_andn2_b64 vcc, exec, s[42:43]
	v_addc_co_u32_e64 v4, s[0:1], v12, v4, s[0:1]
	s_cbranch_vccnz .LBB69_2
; %bb.35:                               ;   in Loop: Header=BB69_3 Depth=1
	global_load_dword v11, v[3:4], off
	s_waitcnt vmcnt(0)
	v_cvt_f64_f32_e32 v[11:12], v11
	v_mul_f64 v[11:12], s[30:31], v[11:12]
	v_fma_f64 v[1:2], s[28:29], v[1:2], v[11:12]
	s_branch .LBB69_2
.LBB69_36:
	s_endpgm
	.section	.rodata,"a",@progbits
	.p2align	6, 0x0
	.amdhsa_kernel naive_conv_ab_nonpacked_bwd_ncdhw_float_double_float
		.amdhsa_group_segment_fixed_size 0
		.amdhsa_private_segment_fixed_size 0
		.amdhsa_kernarg_size 528
		.amdhsa_user_sgpr_count 6
		.amdhsa_user_sgpr_private_segment_buffer 1
		.amdhsa_user_sgpr_dispatch_ptr 0
		.amdhsa_user_sgpr_queue_ptr 0
		.amdhsa_user_sgpr_kernarg_segment_ptr 1
		.amdhsa_user_sgpr_dispatch_id 0
		.amdhsa_user_sgpr_flat_scratch_init 0
		.amdhsa_user_sgpr_private_segment_size 0
		.amdhsa_uses_dynamic_stack 0
		.amdhsa_system_sgpr_private_segment_wavefront_offset 0
		.amdhsa_system_sgpr_workgroup_id_x 1
		.amdhsa_system_sgpr_workgroup_id_y 0
		.amdhsa_system_sgpr_workgroup_id_z 0
		.amdhsa_system_sgpr_workgroup_info 0
		.amdhsa_system_vgpr_workitem_id 0
		.amdhsa_next_free_vgpr 28
		.amdhsa_next_free_sgpr 90
		.amdhsa_reserve_vcc 1
		.amdhsa_reserve_flat_scratch 0
		.amdhsa_float_round_mode_32 0
		.amdhsa_float_round_mode_16_64 0
		.amdhsa_float_denorm_mode_32 3
		.amdhsa_float_denorm_mode_16_64 3
		.amdhsa_dx10_clamp 1
		.amdhsa_ieee_mode 1
		.amdhsa_fp16_overflow 0
		.amdhsa_exception_fp_ieee_invalid_op 0
		.amdhsa_exception_fp_denorm_src 0
		.amdhsa_exception_fp_ieee_div_zero 0
		.amdhsa_exception_fp_ieee_overflow 0
		.amdhsa_exception_fp_ieee_underflow 0
		.amdhsa_exception_fp_ieee_inexact 0
		.amdhsa_exception_int_div_zero 0
	.end_amdhsa_kernel
	.text
.Lfunc_end69:
	.size	naive_conv_ab_nonpacked_bwd_ncdhw_float_double_float, .Lfunc_end69-naive_conv_ab_nonpacked_bwd_ncdhw_float_double_float
                                        ; -- End function
	.set naive_conv_ab_nonpacked_bwd_ncdhw_float_double_float.num_vgpr, 28
	.set naive_conv_ab_nonpacked_bwd_ncdhw_float_double_float.num_agpr, 0
	.set naive_conv_ab_nonpacked_bwd_ncdhw_float_double_float.numbered_sgpr, 90
	.set naive_conv_ab_nonpacked_bwd_ncdhw_float_double_float.num_named_barrier, 0
	.set naive_conv_ab_nonpacked_bwd_ncdhw_float_double_float.private_seg_size, 0
	.set naive_conv_ab_nonpacked_bwd_ncdhw_float_double_float.uses_vcc, 1
	.set naive_conv_ab_nonpacked_bwd_ncdhw_float_double_float.uses_flat_scratch, 0
	.set naive_conv_ab_nonpacked_bwd_ncdhw_float_double_float.has_dyn_sized_stack, 0
	.set naive_conv_ab_nonpacked_bwd_ncdhw_float_double_float.has_recursion, 0
	.set naive_conv_ab_nonpacked_bwd_ncdhw_float_double_float.has_indirect_call, 0
	.section	.AMDGPU.csdata,"",@progbits
; Kernel info:
; codeLenInByte = 2724
; TotalNumSgprs: 94
; NumVgprs: 28
; ScratchSize: 0
; MemoryBound: 0
; FloatMode: 240
; IeeeMode: 1
; LDSByteSize: 0 bytes/workgroup (compile time only)
; SGPRBlocks: 11
; VGPRBlocks: 6
; NumSGPRsForWavesPerEU: 94
; NumVGPRsForWavesPerEU: 28
; Occupancy: 8
; WaveLimiterHint : 1
; COMPUTE_PGM_RSRC2:SCRATCH_EN: 0
; COMPUTE_PGM_RSRC2:USER_SGPR: 6
; COMPUTE_PGM_RSRC2:TRAP_HANDLER: 0
; COMPUTE_PGM_RSRC2:TGID_X_EN: 1
; COMPUTE_PGM_RSRC2:TGID_Y_EN: 0
; COMPUTE_PGM_RSRC2:TGID_Z_EN: 0
; COMPUTE_PGM_RSRC2:TIDIG_COMP_CNT: 0
	.text
	.protected	naive_conv_ab_packed_bwd_ncdhw_half_double_half ; -- Begin function naive_conv_ab_packed_bwd_ncdhw_half_double_half
	.globl	naive_conv_ab_packed_bwd_ncdhw_half_double_half
	.p2align	8
	.type	naive_conv_ab_packed_bwd_ncdhw_half_double_half,@function
naive_conv_ab_packed_bwd_ncdhw_half_double_half: ; @naive_conv_ab_packed_bwd_ncdhw_half_double_half
; %bb.0:
	s_load_dwordx16 s[8:23], s[4:5], 0xb8
	s_abs_i32 s7, s6
	s_waitcnt lgkmcnt(0)
	s_abs_i32 s1, s13
	v_cvt_f32_u32_e32 v1, s1
	s_sub_i32 s2, 0, s1
	s_mul_i32 s0, s13, s11
	s_mul_i32 s40, s10, s9
	v_rcp_iflag_f32_e32 v1, v1
	v_mul_f32_e32 v1, 0x4f7ffffe, v1
	v_cvt_u32_f32_e32 v1, v1
	v_readfirstlane_b32 s3, v1
	s_mul_i32 s2, s2, s3
	s_mul_hi_u32 s2, s3, s2
	s_add_i32 s3, s3, s2
	s_mul_hi_u32 s2, s7, s3
	s_mul_i32 s3, s2, s1
	s_sub_i32 s3, s7, s3
	s_add_i32 s24, s2, 1
	s_sub_i32 s25, s3, s1
	s_cmp_ge_u32 s3, s1
	s_cselect_b32 s2, s24, s2
	s_cselect_b32 s3, s25, s3
	s_add_i32 s24, s2, 1
	s_cmp_ge_u32 s3, s1
	s_cselect_b32 s1, s24, s2
	s_abs_i32 s38, s11
	s_abs_i32 s33, s0
	v_cvt_f32_u32_e32 v1, s38
	v_cvt_f32_u32_e32 v2, s33
	s_mul_i32 s11, s40, s8
	v_cmp_gt_i32_e32 vcc, s11, v0
	v_rcp_iflag_f32_e32 v1, v1
	v_rcp_iflag_f32_e32 v2, v2
	v_mul_f32_e32 v1, 0x4f7ffffe, v1
	v_mul_f32_e32 v2, 0x4f7ffffe, v2
	v_cvt_u32_f32_e32 v1, v1
	v_cvt_u32_f32_e32 v2, v2
	v_readfirstlane_b32 s3, v1
	v_readfirstlane_b32 s2, v2
	s_and_saveexec_b64 s[24:25], vcc
	s_cbranch_execz .LBB70_38
; %bb.1:
	s_ashr_i32 s39, s6, 31
	s_ashr_i32 s42, s13, 31
	s_xor_b32 s34, s39, s42
	s_xor_b32 s1, s1, s34
	s_sub_i32 s41, s1, s34
	s_sub_i32 s1, 0, s38
	s_mul_i32 s1, s1, s3
	s_mul_hi_u32 s1, s3, s1
	s_ashr_i32 s46, s0, 31
	s_sub_i32 s0, 0, s33
	s_abs_i32 s44, s41
	s_add_i32 s3, s3, s1
	s_mul_i32 s0, s0, s2
	s_mul_hi_u32 s45, s44, s3
	s_mul_hi_u32 s0, s2, s0
	s_add_i32 s2, s2, s0
	s_mul_i32 s45, s45, s38
	s_load_dwordx8 s[24:31], s[4:5], 0x0
	s_ashr_i32 s43, s41, 31
	s_load_dwordx2 s[34:35], s[4:5], 0x108
	s_mul_hi_u32 s47, s7, s2
	s_load_dwordx2 s[36:37], s[4:5], 0x20
	s_load_dwordx4 s[0:3], s[4:5], 0xf8
	s_load_dword s48, s[4:5], 0x11c
	s_mul_i32 s41, s41, s13
	s_sub_i32 s5, s44, s45
	s_sub_i32 s41, s6, s41
	s_sub_i32 s6, s5, s38
	s_cmp_ge_u32 s5, s38
	s_cselect_b32 s5, s6, s5
	s_sub_i32 s6, s5, s38
	s_cmp_ge_u32 s5, s38
	s_waitcnt lgkmcnt(0)
	s_mul_i32 s49, s35, s12
	s_mul_i32 s4, s35, s13
	s_cselect_b32 s5, s6, s5
	s_mul_i32 s35, s47, s33
	s_xor_b32 s5, s5, s43
	s_sub_i32 s7, s7, s35
	s_sub_i32 s6, s5, s43
	s_xor_b32 s5, s39, s46
	s_add_i32 s35, s47, 1
	s_sub_i32 s38, s7, s33
	s_cmp_ge_u32 s7, s33
	s_cselect_b32 s35, s35, s47
	s_cselect_b32 s7, s38, s7
	s_add_i32 s38, s35, 1
	s_cmp_ge_u32 s7, s33
	s_cselect_b32 s7, s38, s35
	s_xor_b32 s7, s7, s5
	s_sub_i32 s7, s7, s5
	s_mul_hi_i32 s5, s6, s4
	s_mul_i32 s4, s6, s4
	s_ashr_i32 s33, s10, 31
	s_ashr_i32 s43, s41, 31
	s_add_u32 s4, s4, s41
	s_mul_i32 s38, s7, s13
	s_addc_u32 s5, s5, s43
	s_mul_hi_i32 s35, s7, s13
	s_add_u32 s4, s4, s38
	s_addc_u32 s5, s5, s35
	s_mul_hi_i32 s35, s9, s8
	s_mul_i32 s8, s9, s8
	s_mul_i32 s38, s8, s33
	s_mul_hi_u32 s39, s8, s10
	s_add_i32 s38, s39, s38
	s_mul_i32 s35, s35, s10
	s_mul_i32 s8, s8, s10
	s_add_i32 s35, s38, s35
	s_mul_i32 s5, s8, s5
	s_mul_hi_u32 s38, s8, s4
	s_add_i32 s5, s38, s5
	s_mul_i32 s35, s35, s4
	s_add_i32 s5, s5, s35
	s_mul_i32 s4, s8, s4
	s_lshl_b64 s[4:5], s[4:5], 1
	s_add_u32 s52, s24, s4
	s_addc_u32 s53, s25, s5
	s_mul_i32 s5, s7, s12
	s_mul_hi_i32 s4, s7, s12
	s_mul_i32 s7, s5, s42
	s_mul_hi_u32 s8, s5, s13
	s_add_i32 s7, s8, s7
	s_mul_i32 s8, s4, s13
	s_add_i32 s8, s7, s8
	s_ashr_i32 s47, s2, 31
	s_ashr_i32 s35, s34, 31
	s_mul_hi_i32 s7, s6, s49
	s_mul_i32 s6, s6, s49
	s_ashr_i32 s54, s14, 31
	s_ashr_i32 s55, s15, 31
	;; [unrolled: 1-line block ×3, first 2 shown]
	s_add_u32 s6, s5, s6
	s_addc_u32 s4, s4, s7
	s_mul_i32 s7, s15, s14
	s_mul_i32 s46, s5, s13
	s_mul_hi_i32 s5, s15, s14
	s_mul_i32 s24, s7, s56
	s_mul_hi_u32 s25, s7, s16
	s_add_i32 s24, s25, s24
	s_mul_i32 s5, s5, s16
	s_mul_i32 s7, s7, s16
	s_add_i32 s5, s24, s5
	s_mul_i32 s4, s7, s4
	s_mul_hi_u32 s24, s7, s6
	s_add_i32 s4, s24, s4
	s_mul_i32 s5, s5, s6
	s_add_i32 s5, s4, s5
	s_mul_i32 s4, s7, s6
	s_lshl_b64 s[4:5], s[4:5], 1
	s_add_u32 s57, s36, s4
	s_addc_u32 s58, s37, s5
	s_cmp_gt_i32 s12, 0
	s_cselect_b64 s[4:5], -1, 0
	s_cmp_gt_i32 s2, 0
	s_cselect_b64 s[6:7], -1, 0
	;; [unrolled: 2-line block ×4, first 2 shown]
	s_abs_i32 s60, s10
	s_abs_i32 s61, s9
	v_cvt_f32_u32_e32 v1, s60
	v_cvt_f32_u32_e32 v2, s61
	v_cmp_neq_f64_e64 s[38:39], s[28:29], 1.0
	v_cmp_neq_f64_e64 s[44:45], s[30:31], 0
	s_abs_i32 s63, s40
	s_abs_i32 s65, s17
	;; [unrolled: 1-line block ×4, first 2 shown]
	v_rcp_iflag_f32_e32 v1, v1
	v_rcp_iflag_f32_e32 v2, v2
	v_cvt_f32_u32_e32 v3, s63
	v_cvt_f32_u32_e32 v5, s65
	;; [unrolled: 1-line block ×4, first 2 shown]
	v_mul_f32_e32 v1, 0x4f7ffffe, v1
	v_mul_f32_e32 v2, 0x4f7ffffe, v2
	v_rcp_iflag_f32_e32 v3, v3
	v_rcp_iflag_f32_e32 v5, v5
	;; [unrolled: 1-line block ×4, first 2 shown]
	v_cvt_u32_f32_e32 v1, v1
	v_cvt_u32_f32_e32 v2, v2
	s_or_b64 s[38:39], s[38:39], s[44:45]
	s_and_b32 s59, s48, 0xffff
	s_sub_i32 s44, 0, s60
	s_ashr_i32 s62, s40, 31
	s_sub_i32 s45, 0, s61
	s_sub_i32 s48, 0, s63
	s_ashr_i32 s64, s17, 31
	s_sub_i32 s17, 0, s65
	s_ashr_i32 s66, s18, 31
	;; [unrolled: 2-line block ×3, first 2 shown]
	s_sub_i32 s50, 0, s69
	s_add_u32 s18, s46, s41
	s_mul_i32 s40, s34, s3
	v_mul_f32_e32 v3, 0x4f7ffffe, v3
	v_mul_f32_e32 v5, 0x4f7ffffe, v5
	;; [unrolled: 1-line block ×4, first 2 shown]
	s_addc_u32 s8, s8, s43
	s_mul_i32 s43, s40, s2
	v_mul_lo_u32 v4, s44, v1
	v_mul_lo_u32 v6, s45, v2
	v_cvt_u32_f32_e32 v3, v3
	v_cvt_u32_f32_e32 v5, v5
	v_cvt_u32_f32_e32 v7, v7
	v_cvt_u32_f32_e32 v8, v8
	s_mul_i32 s8, s43, s8
	s_mul_hi_u32 s19, s43, s18
	s_add_i32 s8, s19, s8
	s_mul_i32 s19, s40, s47
	s_mul_hi_u32 s41, s40, s2
	s_add_i32 s19, s41, s19
	s_mul_hi_i32 s41, s34, s3
	s_mul_i32 s46, s41, s2
	v_mul_lo_u32 v12, s48, v3
	v_mul_lo_u32 v13, s17, v5
	;; [unrolled: 1-line block ×4, first 2 shown]
	v_mul_hi_u32 v4, v1, v4
	v_mul_hi_u32 v6, v2, v6
	s_add_i32 s46, s19, s46
	s_mul_i32 s19, s46, s18
	s_add_i32 s19, s8, s19
	s_mul_i32 s18, s43, s18
	s_lshl_b64 s[18:19], s[18:19], 1
	v_add_u32_e32 v9, v1, v4
	v_add_u32_e32 v11, v2, v6
	v_mul_hi_u32 v1, v3, v12
	v_mul_hi_u32 v2, v5, v13
	;; [unrolled: 1-line block ×4, first 2 shown]
	s_add_u32 s18, s26, s18
	s_mul_i32 s8, s43, s42
	s_mul_hi_u32 s17, s43, s13
	s_addc_u32 s19, s27, s19
	s_add_i32 s8, s17, s8
	s_mul_i32 s46, s46, s13
	s_add_i32 s27, s8, s46
	s_mul_i32 s26, s43, s13
	v_mov_b32_e32 v10, 0
	v_add_u32_e32 v12, v3, v1
	v_add_u32_e32 v13, v5, v2
	;; [unrolled: 1-line block ×4, first 2 shown]
	s_lshl_b64 s[26:27], s[26:27], 1
	s_lshl_b64 s[40:41], s[40:41], 1
	v_mov_b32_e32 v16, 0x7c00
	v_mov_b32_e32 v17, 0x7e00
	s_mov_b32 s13, s9
	s_mov_b32 s70, s14
	s_mov_b32 s71, s15
	s_mov_b32 s72, s16
	s_movk_i32 s73, 0x1ff
	s_movk_i32 s74, 0xffe
	;; [unrolled: 1-line block ×3, first 2 shown]
	s_mov_b32 s76, 0x8000
	s_mov_b64 s[8:9], 0
	s_lshl_b64 s[14:15], s[34:35], 1
	s_branch .LBB70_3
.LBB70_2:                               ;   in Loop: Header=BB70_3 Depth=1
	v_add_u32_e32 v0, s59, v0
	v_cmp_le_i32_e32 vcc, s11, v0
	s_or_b64 s[8:9], vcc, s[8:9]
	s_andn2_b64 exec, exec, s[8:9]
	s_cbranch_execz .LBB70_38
.LBB70_3:                               ; =>This Loop Header: Depth=1
                                        ;     Child Loop BB70_6 Depth 2
                                        ;       Child Loop BB70_9 Depth 3
                                        ;         Child Loop BB70_18 Depth 4
                                        ;           Child Loop BB70_25 Depth 5
	v_sub_u32_e32 v1, 0, v0
	v_max_i32_e32 v1, v0, v1
	v_mul_hi_u32 v2, v1, v9
	v_ashrrev_i32_e32 v5, 31, v0
	v_xor_b32_e32 v4, s33, v5
	v_mul_hi_u32 v8, v1, v12
	v_mul_lo_u32 v3, v2, s60
	v_add_u32_e32 v6, 1, v2
	v_sub_u32_e32 v3, v1, v3
	v_cmp_le_u32_e32 vcc, s60, v3
	v_cndmask_b32_e32 v2, v2, v6, vcc
	v_subrev_u32_e32 v6, s60, v3
	v_cndmask_b32_e32 v3, v3, v6, vcc
	v_add_u32_e32 v6, 1, v2
	v_cmp_le_u32_e32 vcc, s60, v3
	v_cndmask_b32_e32 v2, v2, v6, vcc
	v_xor_b32_e32 v2, v2, v4
	v_sub_u32_e32 v2, v2, v4
	v_sub_u32_e32 v3, 0, v2
	v_max_i32_e32 v4, v2, v3
	v_mul_hi_u32 v3, v4, v11
	v_mul_lo_u32 v6, v2, s10
	v_ashrrev_i32_e32 v2, 31, v2
	v_mul_lo_u32 v7, v3, s61
	v_sub_u32_e32 v3, v0, v6
	v_sub_u32_e32 v4, v4, v7
	v_subrev_u32_e32 v6, s61, v4
	v_cmp_le_u32_e32 vcc, s61, v4
	v_cndmask_b32_e32 v4, v4, v6, vcc
	v_subrev_u32_e32 v6, s61, v4
	v_cmp_le_u32_e32 vcc, s61, v4
	v_cndmask_b32_e32 v4, v4, v6, vcc
	v_mul_lo_u32 v6, v8, s63
	v_xor_b32_e32 v4, v4, v2
	v_sub_u32_e32 v4, v4, v2
	v_xor_b32_e32 v2, s62, v5
	v_sub_u32_e32 v1, v1, v6
	v_add_u32_e32 v5, 1, v8
	v_cmp_le_u32_e32 vcc, s63, v1
	v_subrev_u32_e32 v6, s63, v1
	v_cndmask_b32_e32 v5, v8, v5, vcc
	v_cndmask_b32_e32 v1, v1, v6, vcc
	v_add_u32_e32 v6, 1, v5
	v_cmp_le_u32_e32 vcc, s63, v1
	v_cndmask_b32_e32 v1, v5, v6, vcc
	v_xor_b32_e32 v1, v1, v2
	s_andn2_b64 vcc, exec, s[4:5]
	v_sub_u32_e32 v18, v1, v2
	s_cbranch_vccnz .LBB70_33
; %bb.4:                                ;   in Loop: Header=BB70_3 Depth=1
	v_mov_b32_e32 v1, 0
	v_add_u32_e32 v19, s23, v18
	v_add_u32_e32 v20, s0, v4
	;; [unrolled: 1-line block ×3, first 2 shown]
	v_mov_b32_e32 v2, 0
	s_mov_b32 s35, 0
	s_mov_b64 s[16:17], s[18:19]
	s_branch .LBB70_6
.LBB70_5:                               ;   in Loop: Header=BB70_6 Depth=2
	s_add_i32 s35, s35, 1
	s_add_u32 s16, s16, s26
	s_addc_u32 s17, s17, s27
	s_cmp_eq_u32 s35, s12
	s_cbranch_scc1 .LBB70_34
.LBB70_6:                               ;   Parent Loop BB70_3 Depth=1
                                        ; =>  This Loop Header: Depth=2
                                        ;       Child Loop BB70_9 Depth 3
                                        ;         Child Loop BB70_18 Depth 4
                                        ;           Child Loop BB70_25 Depth 5
	s_andn2_b64 vcc, exec, s[6:7]
	s_cbranch_vccnz .LBB70_5
; %bb.7:                                ;   in Loop: Header=BB70_6 Depth=2
	s_mul_i32 s42, s35, s54
	s_mul_hi_u32 s43, s35, s70
	s_add_i32 s77, s43, s42
	s_mul_i32 s78, s35, s70
	s_mov_b32 s79, 0
	s_mov_b64 s[42:43], s[16:17]
	s_branch .LBB70_9
.LBB70_8:                               ;   in Loop: Header=BB70_9 Depth=3
	s_add_i32 s79, s79, 1
	s_add_u32 s42, s42, s40
	s_addc_u32 s43, s43, s41
	s_cmp_eq_u32 s79, s2
	s_cbranch_scc1 .LBB70_5
.LBB70_9:                               ;   Parent Loop BB70_3 Depth=1
                                        ;     Parent Loop BB70_6 Depth=2
                                        ; =>    This Loop Header: Depth=3
                                        ;         Child Loop BB70_18 Depth 4
                                        ;           Child Loop BB70_25 Depth 5
	s_mul_i32 s44, s20, s79
	v_subrev_u32_e32 v23, s44, v19
	v_sub_u32_e32 v5, 0, v23
	v_cmp_lt_i32_e32 vcc, -1, v23
	s_mov_b64 s[44:45], 0
	v_ashrrev_i32_e32 v6, 31, v23
	v_max_i32_e32 v22, v23, v5
                                        ; implicit-def: $vgpr5
                                        ; implicit-def: $vgpr7
                                        ; implicit-def: $vgpr8
	s_and_saveexec_b64 s[46:47], vcc
	s_xor_b64 s[46:47], exec, s[46:47]
	s_cbranch_execnz .LBB70_13
; %bb.10:                               ;   in Loop: Header=BB70_9 Depth=3
	s_andn2_saveexec_b64 s[46:47], s[46:47]
	s_cbranch_execnz .LBB70_14
.LBB70_11:                              ;   in Loop: Header=BB70_9 Depth=3
	s_or_b64 exec, exec, s[46:47]
	v_mov_b32_e32 v22, 1
	s_and_saveexec_b64 s[46:47], s[44:45]
	s_cbranch_execnz .LBB70_15
.LBB70_12:                              ;   in Loop: Header=BB70_9 Depth=3
	s_or_b64 exec, exec, s[46:47]
	s_andn2_b64 vcc, exec, s[24:25]
	s_cbranch_vccz .LBB70_16
	s_branch .LBB70_8
.LBB70_13:                              ;   in Loop: Header=BB70_9 Depth=3
	v_mul_hi_u32 v5, v22, v13
	v_ashrrev_i32_e32 v6, 31, v23
	v_mul_lo_u32 v7, v5, s65
	v_sub_u32_e32 v7, v22, v7
	v_subrev_u32_e32 v8, s65, v7
	v_cmp_le_u32_e32 vcc, s65, v7
	v_cndmask_b32_e32 v22, v7, v8, vcc
	v_subrev_u32_e32 v23, s65, v22
	v_cmp_le_u32_e32 vcc, s65, v22
	v_cndmask_b32_e32 v22, v22, v23, vcc
	v_xor_b32_e32 v22, v22, v6
	v_sub_u32_e32 v22, v22, v6
	v_cmp_ne_u32_e32 vcc, 0, v22
	s_and_b64 s[44:45], vcc, exec
                                        ; implicit-def: $vgpr22
	s_andn2_saveexec_b64 s[46:47], s[46:47]
	s_cbranch_execz .LBB70_11
.LBB70_14:                              ;   in Loop: Header=BB70_9 Depth=3
	v_mul_hi_u32 v5, v22, v13
	s_or_b64 s[44:45], s[44:45], exec
	v_mul_lo_u32 v7, v5, s65
	v_sub_u32_e32 v7, v22, v7
	v_subrev_u32_e32 v8, s65, v7
	s_or_b64 exec, exec, s[46:47]
	v_mov_b32_e32 v22, 1
	s_and_saveexec_b64 s[46:47], s[44:45]
	s_cbranch_execz .LBB70_12
.LBB70_15:                              ;   in Loop: Header=BB70_9 Depth=3
	v_mov_b32_e32 v22, 0
	s_or_b64 exec, exec, s[46:47]
	s_andn2_b64 vcc, exec, s[24:25]
	s_cbranch_vccnz .LBB70_8
.LBB70_16:                              ;   in Loop: Header=BB70_9 Depth=3
	v_add_u32_e32 v23, 1, v5
	v_cmp_le_u32_e32 vcc, s65, v7
	v_cndmask_b32_e32 v5, v5, v23, vcc
	v_cndmask_b32_e32 v7, v7, v8, vcc
	v_add_u32_e32 v8, 1, v5
	v_cmp_le_u32_e32 vcc, s65, v7
	v_xor_b32_e32 v6, s64, v6
	v_cndmask_b32_e32 v5, v5, v8, vcc
	v_xor_b32_e32 v5, v5, v6
	v_sub_u32_e32 v7, v5, v6
	v_ashrrev_i32_e32 v5, 31, v7
	v_mov_b32_e32 v6, s77
	v_add_co_u32_e32 v8, vcc, s78, v7
	v_addc_co_u32_e32 v5, vcc, v6, v5, vcc
	v_mul_lo_u32 v23, v5, s71
	v_mul_lo_u32 v24, v8, s55
	v_mad_u64_u32 v[5:6], s[44:45], v8, s71, 0
	v_cmp_gt_i32_e32 vcc, s70, v7
	s_mov_b32 s80, 0
	v_cndmask_b32_e32 v22, 0, v22, vcc
	v_add3_u32 v6, v6, v24, v23
	s_mov_b64 s[44:45], s[42:43]
	s_branch .LBB70_18
.LBB70_17:                              ;   in Loop: Header=BB70_18 Depth=4
	s_add_i32 s80, s80, 1
	s_add_u32 s44, s44, s14
	s_addc_u32 s45, s45, s15
	s_cmp_eq_u32 s80, s3
	s_cbranch_scc1 .LBB70_8
.LBB70_18:                              ;   Parent Loop BB70_3 Depth=1
                                        ;     Parent Loop BB70_6 Depth=2
                                        ;       Parent Loop BB70_9 Depth=3
                                        ; =>      This Loop Header: Depth=4
                                        ;           Child Loop BB70_25 Depth 5
	s_mul_i32 s46, s21, s80
	v_subrev_u32_e32 v7, s46, v20
	v_sub_u32_e32 v23, 0, v7
	v_cmp_gt_i32_e64 s[46:47], 0, v7
	v_cmp_lt_i32_e32 vcc, -1, v7
	v_ashrrev_i32_e32 v8, 31, v7
	v_max_i32_e32 v7, v7, v23
	s_and_saveexec_b64 s[48:49], vcc
	s_cbranch_execnz .LBB70_21
; %bb.19:                               ;   in Loop: Header=BB70_18 Depth=4
	s_or_b64 exec, exec, s[48:49]
	v_mov_b32_e32 v23, 1
	s_and_saveexec_b64 s[48:49], s[46:47]
	s_cbranch_execnz .LBB70_22
.LBB70_20:                              ;   in Loop: Header=BB70_18 Depth=4
	s_or_b64 exec, exec, s[48:49]
	s_andn2_b64 vcc, exec, s[36:37]
	s_cbranch_vccz .LBB70_23
	s_branch .LBB70_17
.LBB70_21:                              ;   in Loop: Header=BB70_18 Depth=4
	v_mul_hi_u32 v23, v7, v14
	s_andn2_b64 s[46:47], s[46:47], exec
	v_mul_lo_u32 v23, v23, s67
	v_sub_u32_e32 v23, v7, v23
	v_subrev_u32_e32 v24, s67, v23
	v_cmp_le_u32_e32 vcc, s67, v23
	v_cndmask_b32_e32 v23, v23, v24, vcc
	v_subrev_u32_e32 v24, s67, v23
	v_cmp_le_u32_e32 vcc, s67, v23
	v_cndmask_b32_e32 v23, v23, v24, vcc
	v_xor_b32_e32 v23, v23, v8
	v_sub_u32_e32 v23, v23, v8
	v_cmp_ne_u32_e32 vcc, 0, v23
	s_and_b64 s[50:51], vcc, exec
	s_or_b64 s[46:47], s[46:47], s[50:51]
	s_or_b64 exec, exec, s[48:49]
	v_mov_b32_e32 v23, 1
	s_and_saveexec_b64 s[48:49], s[46:47]
	s_cbranch_execz .LBB70_20
.LBB70_22:                              ;   in Loop: Header=BB70_18 Depth=4
	v_mov_b32_e32 v23, 0
	s_or_b64 exec, exec, s[48:49]
	s_andn2_b64 vcc, exec, s[36:37]
	s_cbranch_vccnz .LBB70_17
.LBB70_23:                              ;   in Loop: Header=BB70_18 Depth=4
	v_mul_hi_u32 v24, v7, v14
	v_xor_b32_e32 v8, s66, v8
	s_mov_b32 s81, s34
	v_mul_lo_u32 v25, v24, s67
	v_add_u32_e32 v26, 1, v24
	v_sub_u32_e32 v7, v7, v25
	v_cmp_le_u32_e32 vcc, s67, v7
	v_subrev_u32_e32 v25, s67, v7
	v_cndmask_b32_e32 v24, v24, v26, vcc
	v_cndmask_b32_e32 v7, v7, v25, vcc
	v_add_u32_e32 v25, 1, v24
	v_cmp_le_u32_e32 vcc, s67, v7
	v_cndmask_b32_e32 v7, v24, v25, vcc
	v_xor_b32_e32 v7, v7, v8
	v_sub_u32_e32 v24, v7, v8
	v_ashrrev_i32_e32 v7, 31, v24
	v_add_co_u32_e32 v8, vcc, v5, v24
	v_addc_co_u32_e32 v7, vcc, v6, v7, vcc
	v_mul_lo_u32 v25, v7, s72
	v_mul_lo_u32 v26, v8, s56
	v_mad_u64_u32 v[7:8], s[46:47], v8, s72, 0
	v_cmp_gt_i32_e32 vcc, s71, v24
	v_cndmask_b32_e32 v23, 0, v23, vcc
	v_add3_u32 v8, v8, v26, v25
	v_lshlrev_b64 v[7:8], 1, v[7:8]
	v_mov_b32_e32 v25, s58
	v_add_co_u32_e32 v24, vcc, s57, v7
	v_and_b32_e32 v23, v23, v22
	v_addc_co_u32_e32 v25, vcc, v25, v8, vcc
	s_mov_b64 s[46:47], s[44:45]
	v_mov_b32_e32 v26, v21
	s_branch .LBB70_25
.LBB70_24:                              ;   in Loop: Header=BB70_25 Depth=5
	s_or_b64 exec, exec, s[48:49]
	s_add_i32 s81, s81, -1
	s_add_u32 s46, s46, 2
	s_addc_u32 s47, s47, 0
	s_cmp_eq_u32 s81, 0
	v_subrev_u32_e32 v26, s22, v26
	s_cbranch_scc1 .LBB70_17
.LBB70_25:                              ;   Parent Loop BB70_3 Depth=1
                                        ;     Parent Loop BB70_6 Depth=2
                                        ;       Parent Loop BB70_9 Depth=3
                                        ;         Parent Loop BB70_18 Depth=4
                                        ; =>        This Inner Loop Header: Depth=5
	v_sub_u32_e32 v7, 0, v26
	v_cmp_lt_i32_e32 vcc, -1, v26
	s_mov_b64 s[48:49], 0
	v_ashrrev_i32_e32 v8, 31, v26
	v_max_i32_e32 v29, v26, v7
                                        ; implicit-def: $vgpr7
                                        ; implicit-def: $vgpr27
                                        ; implicit-def: $vgpr28
	s_and_saveexec_b64 s[50:51], vcc
	s_xor_b64 s[50:51], exec, s[50:51]
	s_cbranch_execnz .LBB70_31
; %bb.26:                               ;   in Loop: Header=BB70_25 Depth=5
	s_andn2_saveexec_b64 s[50:51], s[50:51]
	s_cbranch_execnz .LBB70_32
.LBB70_27:                              ;   in Loop: Header=BB70_25 Depth=5
	s_or_b64 exec, exec, s[50:51]
	v_mov_b32_e32 v29, 1
	s_and_saveexec_b64 s[50:51], s[48:49]
.LBB70_28:                              ;   in Loop: Header=BB70_25 Depth=5
	v_mov_b32_e32 v29, 0
.LBB70_29:                              ;   in Loop: Header=BB70_25 Depth=5
	s_or_b64 exec, exec, s[50:51]
	v_add_u32_e32 v30, 1, v7
	v_cmp_le_u32_e32 vcc, s69, v27
	v_cndmask_b32_e32 v7, v7, v30, vcc
	v_cndmask_b32_e32 v27, v27, v28, vcc
	v_add_u32_e32 v28, 1, v7
	v_cmp_le_u32_e32 vcc, s69, v27
	v_xor_b32_e32 v8, s68, v8
	v_cndmask_b32_e32 v7, v7, v28, vcc
	v_xor_b32_e32 v7, v7, v8
	v_sub_u32_e32 v7, v7, v8
	v_cmp_gt_i32_e32 vcc, s72, v7
	v_cndmask_b32_e32 v8, 0, v29, vcc
	v_and_b32_e32 v8, v23, v8
	v_and_b32_e32 v8, 1, v8
	v_cmp_eq_u32_e32 vcc, 1, v8
	s_and_saveexec_b64 s[48:49], vcc
	s_cbranch_execz .LBB70_24
; %bb.30:                               ;   in Loop: Header=BB70_25 Depth=5
	v_ashrrev_i32_e32 v8, 31, v7
	v_lshlrev_b64 v[7:8], 1, v[7:8]
	v_add_co_u32_e32 v7, vcc, v24, v7
	v_addc_co_u32_e32 v8, vcc, v25, v8, vcc
	global_load_ushort v7, v[7:8], off
	s_nop 0
	global_load_ushort v8, v10, s[46:47]
	s_waitcnt vmcnt(1)
	v_cvt_f32_f16_e32 v7, v7
	s_waitcnt vmcnt(0)
	v_cvt_f32_f16_e32 v27, v8
	v_cvt_f64_f32_e32 v[7:8], v7
	v_cvt_f64_f32_e32 v[27:28], v27
	v_fma_f64 v[1:2], v[7:8], v[27:28], v[1:2]
	s_branch .LBB70_24
.LBB70_31:                              ;   in Loop: Header=BB70_25 Depth=5
	v_mul_hi_u32 v7, v29, v15
	v_ashrrev_i32_e32 v8, 31, v26
	v_mul_lo_u32 v27, v7, s69
	v_sub_u32_e32 v27, v29, v27
	v_subrev_u32_e32 v28, s69, v27
	v_cmp_le_u32_e32 vcc, s69, v27
	v_cndmask_b32_e32 v29, v27, v28, vcc
	v_subrev_u32_e32 v30, s69, v29
	v_cmp_le_u32_e32 vcc, s69, v29
	v_cndmask_b32_e32 v29, v29, v30, vcc
	v_xor_b32_e32 v29, v29, v8
	v_sub_u32_e32 v29, v29, v8
	v_cmp_ne_u32_e32 vcc, 0, v29
	s_and_b64 s[48:49], vcc, exec
                                        ; implicit-def: $vgpr29
	s_andn2_saveexec_b64 s[50:51], s[50:51]
	s_cbranch_execz .LBB70_27
.LBB70_32:                              ;   in Loop: Header=BB70_25 Depth=5
	v_mul_hi_u32 v7, v29, v15
	s_or_b64 s[48:49], s[48:49], exec
	v_mul_lo_u32 v27, v7, s69
	v_sub_u32_e32 v27, v29, v27
	v_subrev_u32_e32 v28, s69, v27
	s_or_b64 exec, exec, s[50:51]
	v_mov_b32_e32 v29, 1
	s_and_saveexec_b64 s[50:51], s[48:49]
	s_cbranch_execnz .LBB70_28
	s_branch .LBB70_29
.LBB70_33:                              ;   in Loop: Header=BB70_3 Depth=1
	v_mov_b32_e32 v1, 0
	v_mov_b32_e32 v2, 0
.LBB70_34:                              ;   in Loop: Header=BB70_3 Depth=1
	v_ashrrev_i32_e32 v5, 31, v4
	v_mad_i64_i32 v[5:6], s[16:17], v18, s13, v[4:5]
	v_ashrrev_i32_e32 v4, 31, v3
	s_and_b64 vcc, exec, s[38:39]
	v_mad_u64_u32 v[3:4], s[16:17], v5, s10, v[3:4]
	v_mul_lo_u32 v5, v5, s33
	v_mul_lo_u32 v6, v6, s10
	s_mov_b64 s[16:17], -1
	v_add3_u32 v4, v6, v4, v5
	v_lshlrev_b64 v[3:4], 1, v[3:4]
	s_cbranch_vccz .LBB70_36
; %bb.35:                               ;   in Loop: Header=BB70_3 Depth=1
	v_mov_b32_e32 v6, s53
	v_add_co_u32_e32 v5, vcc, s52, v3
	v_addc_co_u32_e32 v6, vcc, v6, v4, vcc
	global_load_ushort v7, v[5:6], off
	s_mov_b64 s[16:17], 0
	s_waitcnt vmcnt(0)
	v_cvt_f32_f16_e32 v7, v7
	v_cvt_f64_f32_e32 v[7:8], v7
	v_mul_f64 v[7:8], s[30:31], v[7:8]
	v_fma_f64 v[7:8], s[28:29], v[1:2], v[7:8]
	v_and_or_b32 v7, v8, s73, v7
	v_cmp_ne_u32_e32 vcc, 0, v7
	v_lshrrev_b32_e32 v18, 8, v8
	v_bfe_u32 v19, v8, 20, 11
	v_cndmask_b32_e64 v7, 0, 1, vcc
	v_sub_u32_e32 v20, 0x3f1, v19
	v_and_or_b32 v7, v18, s74, v7
	v_med3_i32 v18, v20, 0, 13
	v_or_b32_e32 v20, 0x1000, v7
	v_lshrrev_b32_e32 v22, v18, v20
	v_add_u32_e32 v19, 0xfffffc10, v19
	v_cmp_ne_u32_e32 vcc, 0, v7
	v_lshlrev_b32_e32 v18, v18, v22
	v_lshl_or_b32 v21, v19, 12, v7
	v_cndmask_b32_e32 v7, v16, v17, vcc
	v_cmp_ne_u32_e32 vcc, v18, v20
	v_cndmask_b32_e64 v18, 0, 1, vcc
	v_or_b32_e32 v18, v22, v18
	v_cmp_gt_i32_e32 vcc, 1, v19
	v_cndmask_b32_e32 v18, v21, v18, vcc
	v_and_b32_e32 v20, 7, v18
	v_cmp_lt_i32_e32 vcc, 5, v20
	v_cndmask_b32_e64 v21, 0, 1, vcc
	v_cmp_eq_u32_e32 vcc, 3, v20
	v_cndmask_b32_e64 v20, 0, 1, vcc
	v_lshrrev_b32_e32 v18, 2, v18
	v_or_b32_e32 v20, v20, v21
	v_add_u32_e32 v18, v18, v20
	v_cmp_gt_i32_e32 vcc, 31, v19
	v_cndmask_b32_e32 v18, v16, v18, vcc
	v_cmp_eq_u32_e32 vcc, s75, v19
	v_lshrrev_b32_e32 v8, 16, v8
	v_cndmask_b32_e32 v7, v18, v7, vcc
	v_and_or_b32 v7, v8, s76, v7
	global_store_short v[5:6], v7, off
.LBB70_36:                              ;   in Loop: Header=BB70_3 Depth=1
	s_andn2_b64 vcc, exec, s[16:17]
	s_cbranch_vccnz .LBB70_2
; %bb.37:                               ;   in Loop: Header=BB70_3 Depth=1
	v_and_or_b32 v1, v2, s73, v1
	v_cmp_ne_u32_e32 vcc, 0, v1
	v_cndmask_b32_e64 v1, 0, 1, vcc
	v_lshrrev_b32_e32 v5, 8, v2
	v_bfe_u32 v6, v2, 20, 11
	v_and_or_b32 v1, v5, s74, v1
	v_sub_u32_e32 v7, 0x3f1, v6
	v_or_b32_e32 v5, 0x1000, v1
	v_med3_i32 v7, v7, 0, 13
	v_lshrrev_b32_e32 v8, v7, v5
	v_lshlrev_b32_e32 v7, v7, v8
	v_cmp_ne_u32_e32 vcc, v7, v5
	v_cndmask_b32_e64 v5, 0, 1, vcc
	v_add_u32_e32 v6, 0xfffffc10, v6
	v_or_b32_e32 v5, v8, v5
	v_lshl_or_b32 v7, v6, 12, v1
	v_cmp_gt_i32_e32 vcc, 1, v6
	v_cndmask_b32_e32 v5, v7, v5, vcc
	v_and_b32_e32 v7, 7, v5
	v_cmp_lt_i32_e32 vcc, 5, v7
	v_cndmask_b32_e64 v8, 0, 1, vcc
	v_cmp_eq_u32_e32 vcc, 3, v7
	v_cndmask_b32_e64 v7, 0, 1, vcc
	v_or_b32_e32 v7, v7, v8
	v_lshrrev_b32_e32 v5, 2, v5
	v_add_u32_e32 v5, v5, v7
	v_cmp_gt_i32_e32 vcc, 31, v6
	v_cndmask_b32_e32 v5, v16, v5, vcc
	v_cmp_ne_u32_e32 vcc, 0, v1
	v_cndmask_b32_e32 v1, v16, v17, vcc
	v_cmp_eq_u32_e32 vcc, s75, v6
	v_cndmask_b32_e32 v1, v5, v1, vcc
	v_lshrrev_b32_e32 v2, 16, v2
	v_and_or_b32 v5, v2, s76, v1
	v_mov_b32_e32 v2, s53
	v_add_co_u32_e32 v1, vcc, s52, v3
	v_addc_co_u32_e32 v2, vcc, v2, v4, vcc
	global_store_short v[1:2], v5, off
	s_branch .LBB70_2
.LBB70_38:
	s_endpgm
	.section	.rodata,"a",@progbits
	.p2align	6, 0x0
	.amdhsa_kernel naive_conv_ab_packed_bwd_ncdhw_half_double_half
		.amdhsa_group_segment_fixed_size 0
		.amdhsa_private_segment_fixed_size 0
		.amdhsa_kernarg_size 528
		.amdhsa_user_sgpr_count 6
		.amdhsa_user_sgpr_private_segment_buffer 1
		.amdhsa_user_sgpr_dispatch_ptr 0
		.amdhsa_user_sgpr_queue_ptr 0
		.amdhsa_user_sgpr_kernarg_segment_ptr 1
		.amdhsa_user_sgpr_dispatch_id 0
		.amdhsa_user_sgpr_flat_scratch_init 0
		.amdhsa_user_sgpr_private_segment_size 0
		.amdhsa_uses_dynamic_stack 0
		.amdhsa_system_sgpr_private_segment_wavefront_offset 0
		.amdhsa_system_sgpr_workgroup_id_x 1
		.amdhsa_system_sgpr_workgroup_id_y 0
		.amdhsa_system_sgpr_workgroup_id_z 0
		.amdhsa_system_sgpr_workgroup_info 0
		.amdhsa_system_vgpr_workitem_id 0
		.amdhsa_next_free_vgpr 31
		.amdhsa_next_free_sgpr 82
		.amdhsa_reserve_vcc 1
		.amdhsa_reserve_flat_scratch 0
		.amdhsa_float_round_mode_32 0
		.amdhsa_float_round_mode_16_64 0
		.amdhsa_float_denorm_mode_32 3
		.amdhsa_float_denorm_mode_16_64 3
		.amdhsa_dx10_clamp 1
		.amdhsa_ieee_mode 1
		.amdhsa_fp16_overflow 0
		.amdhsa_exception_fp_ieee_invalid_op 0
		.amdhsa_exception_fp_denorm_src 0
		.amdhsa_exception_fp_ieee_div_zero 0
		.amdhsa_exception_fp_ieee_overflow 0
		.amdhsa_exception_fp_ieee_underflow 0
		.amdhsa_exception_fp_ieee_inexact 0
		.amdhsa_exception_int_div_zero 0
	.end_amdhsa_kernel
	.text
.Lfunc_end70:
	.size	naive_conv_ab_packed_bwd_ncdhw_half_double_half, .Lfunc_end70-naive_conv_ab_packed_bwd_ncdhw_half_double_half
                                        ; -- End function
	.set naive_conv_ab_packed_bwd_ncdhw_half_double_half.num_vgpr, 31
	.set naive_conv_ab_packed_bwd_ncdhw_half_double_half.num_agpr, 0
	.set naive_conv_ab_packed_bwd_ncdhw_half_double_half.numbered_sgpr, 82
	.set naive_conv_ab_packed_bwd_ncdhw_half_double_half.num_named_barrier, 0
	.set naive_conv_ab_packed_bwd_ncdhw_half_double_half.private_seg_size, 0
	.set naive_conv_ab_packed_bwd_ncdhw_half_double_half.uses_vcc, 1
	.set naive_conv_ab_packed_bwd_ncdhw_half_double_half.uses_flat_scratch, 0
	.set naive_conv_ab_packed_bwd_ncdhw_half_double_half.has_dyn_sized_stack, 0
	.set naive_conv_ab_packed_bwd_ncdhw_half_double_half.has_recursion, 0
	.set naive_conv_ab_packed_bwd_ncdhw_half_double_half.has_indirect_call, 0
	.section	.AMDGPU.csdata,"",@progbits
; Kernel info:
; codeLenInByte = 3112
; TotalNumSgprs: 86
; NumVgprs: 31
; ScratchSize: 0
; MemoryBound: 0
; FloatMode: 240
; IeeeMode: 1
; LDSByteSize: 0 bytes/workgroup (compile time only)
; SGPRBlocks: 10
; VGPRBlocks: 7
; NumSGPRsForWavesPerEU: 86
; NumVGPRsForWavesPerEU: 31
; Occupancy: 8
; WaveLimiterHint : 1
; COMPUTE_PGM_RSRC2:SCRATCH_EN: 0
; COMPUTE_PGM_RSRC2:USER_SGPR: 6
; COMPUTE_PGM_RSRC2:TRAP_HANDLER: 0
; COMPUTE_PGM_RSRC2:TGID_X_EN: 1
; COMPUTE_PGM_RSRC2:TGID_Y_EN: 0
; COMPUTE_PGM_RSRC2:TGID_Z_EN: 0
; COMPUTE_PGM_RSRC2:TIDIG_COMP_CNT: 0
	.text
	.protected	naive_conv_ab_nonpacked_bwd_ncdhw_half_double_half ; -- Begin function naive_conv_ab_nonpacked_bwd_ncdhw_half_double_half
	.globl	naive_conv_ab_nonpacked_bwd_ncdhw_half_double_half
	.p2align	8
	.type	naive_conv_ab_nonpacked_bwd_ncdhw_half_double_half,@function
naive_conv_ab_nonpacked_bwd_ncdhw_half_double_half: ; @naive_conv_ab_nonpacked_bwd_ncdhw_half_double_half
; %bb.0:
	s_load_dwordx16 s[8:23], s[4:5], 0xb8
	s_abs_i32 s0, s6
	s_waitcnt lgkmcnt(0)
	s_abs_i32 s1, s13
	v_cvt_f32_u32_e32 v1, s1
	s_sub_i32 s2, 0, s1
	s_mul_i32 s3, s13, s11
	s_mul_i32 s68, s10, s9
	v_rcp_iflag_f32_e32 v1, v1
	v_mul_f32_e32 v1, 0x4f7ffffe, v1
	v_cvt_u32_f32_e32 v1, v1
	v_readfirstlane_b32 s7, v1
	s_mul_i32 s2, s2, s7
	s_mul_hi_u32 s2, s7, s2
	s_add_i32 s7, s7, s2
	s_mul_hi_u32 s2, s0, s7
	s_mul_i32 s7, s2, s1
	s_sub_i32 s7, s0, s7
	s_add_i32 s24, s2, 1
	s_sub_i32 s25, s7, s1
	s_cmp_ge_u32 s7, s1
	s_cselect_b32 s2, s24, s2
	s_cselect_b32 s7, s25, s7
	s_add_i32 s24, s2, 1
	s_cmp_ge_u32 s7, s1
	s_cselect_b32 s7, s24, s2
	s_abs_i32 s2, s11
	s_abs_i32 s1, s3
	v_cvt_f32_u32_e32 v1, s2
	v_cvt_f32_u32_e32 v2, s1
	s_mul_i32 s11, s68, s8
	v_cmp_gt_i32_e32 vcc, s11, v0
	v_rcp_iflag_f32_e32 v1, v1
	v_rcp_iflag_f32_e32 v2, v2
	v_mul_f32_e32 v1, 0x4f7ffffe, v1
	v_mul_f32_e32 v2, 0x4f7ffffe, v2
	v_cvt_u32_f32_e32 v1, v1
	v_cvt_u32_f32_e32 v2, v2
	v_readfirstlane_b32 s33, v1
	v_readfirstlane_b32 s8, v2
	s_and_saveexec_b64 s[24:25], vcc
	s_cbranch_execz .LBB71_38
; %bb.1:
	s_ashr_i32 s52, s6, 31
	s_ashr_i32 s36, s13, 31
	s_xor_b32 s36, s52, s36
	s_xor_b32 s7, s7, s36
	s_sub_i32 s7, s7, s36
	s_sub_i32 s36, 0, s2
	s_mul_i32 s36, s36, s33
	s_mul_hi_u32 s36, s33, s36
	s_abs_i32 s54, s7
	s_add_i32 s33, s33, s36
	s_mul_hi_u32 s33, s54, s33
	s_sub_i32 s36, 0, s1
	s_ashr_i32 s53, s7, 31
	s_mul_i32 s36, s36, s8
	s_mul_i32 s7, s7, s13
	;; [unrolled: 1-line block ×3, first 2 shown]
	s_mul_hi_u32 s36, s8, s36
	s_sub_i32 s69, s6, s7
	s_sub_i32 s6, s54, s33
	s_ashr_i32 s3, s3, 31
	s_add_i32 s8, s8, s36
	s_sub_i32 s7, s6, s2
	s_cmp_ge_u32 s6, s2
	s_cselect_b32 s6, s7, s6
	s_sub_i32 s7, s6, s2
	s_cmp_ge_u32 s6, s2
	s_cselect_b32 s2, s7, s6
	s_mul_hi_u32 s8, s0, s8
	s_xor_b32 s2, s2, s53
	s_sub_i32 s53, s2, s53
	s_xor_b32 s2, s52, s3
	s_mul_i32 s3, s8, s1
	s_sub_i32 s0, s0, s3
	s_add_i32 s3, s8, 1
	s_sub_i32 s6, s0, s1
	s_cmp_ge_u32 s0, s1
	s_cselect_b32 s3, s3, s8
	s_load_dwordx16 s[36:51], s[4:5], 0x28
	s_cselect_b32 s0, s6, s0
	s_add_i32 s6, s3, 1
	s_cmp_ge_u32 s0, s1
	s_cselect_b32 s0, s6, s3
	s_xor_b32 s0, s0, s2
	s_sub_i32 s8, s0, s2
	s_ashr_i32 s52, s53, 31
	s_load_dwordx8 s[24:31], s[4:5], 0x0
	s_load_dwordx2 s[34:35], s[4:5], 0x20
	s_waitcnt lgkmcnt(0)
	s_mul_i32 s0, s46, s52
	s_mul_hi_u32 s1, s46, s53
	s_ashr_i32 s73, s8, 31
	s_ashr_i32 s74, s69, 31
	s_add_i32 s0, s1, s0
	s_mul_i32 s1, s47, s53
	s_mul_i32 s2, s44, s73
	s_mul_hi_u32 s3, s44, s8
	s_mul_i32 s6, s42, s74
	s_mul_hi_u32 s7, s42, s69
	s_add_i32 s1, s0, s1
	s_mul_i32 s0, s46, s53
	s_add_i32 s2, s3, s2
	s_mul_i32 s3, s45, s8
	;; [unrolled: 2-line block ×3, first 2 shown]
	s_add_i32 s3, s2, s3
	s_add_i32 s7, s6, s7
	s_lshl_b64 s[0:1], s[0:1], 1
	s_mul_i32 s2, s44, s8
	s_add_u32 s6, s24, s0
	s_load_dwordx4 s[44:47], s[4:5], 0xa8
	s_addc_u32 s13, s25, s1
	s_lshl_b64 s[0:1], s[2:3], 1
	s_add_u32 s2, s6, s0
	s_mul_i32 s6, s42, s69
	s_addc_u32 s3, s13, s1
	s_lshl_b64 s[0:1], s[6:7], 1
	s_add_u32 s13, s2, s0
	s_addc_u32 s33, s3, s1
	s_load_dwordx4 s[0:3], s[4:5], 0xf8
	s_waitcnt lgkmcnt(0)
	s_mul_i32 s6, s46, s52
	s_mul_hi_u32 s7, s46, s53
	s_add_i32 s6, s7, s6
	s_mul_i32 s7, s47, s53
	s_mul_i32 s24, s44, s73
	s_mul_hi_u32 s25, s44, s8
	s_add_i32 s7, s6, s7
	s_mul_i32 s6, s46, s53
	s_add_i32 s24, s25, s24
	s_mul_i32 s25, s45, s8
	s_add_i32 s25, s24, s25
	s_lshl_b64 s[6:7], s[6:7], 1
	s_mul_i32 s24, s44, s8
	s_add_u32 s34, s34, s6
	s_addc_u32 s35, s35, s7
	s_lshl_b64 s[6:7], s[24:25], 1
	s_load_dword s70, s[4:5], 0x108
	s_add_u32 s71, s34, s6
	s_addc_u32 s72, s35, s7
	s_load_dword s75, s[4:5], 0x11c
	s_load_dwordx16 s[52:67], s[4:5], 0x68
	s_cmp_gt_i32 s12, 0
	s_cselect_b64 s[6:7], -1, 0
	s_cmp_gt_i32 s2, 0
	s_cselect_b64 s[24:25], -1, 0
	;; [unrolled: 2-line block ×3, first 2 shown]
	s_waitcnt lgkmcnt(0)
	s_cmp_gt_i32 s70, 0
	s_cselect_b64 s[34:35], -1, 0
	s_mul_i32 s46, s58, s73
	s_and_b32 s73, s75, 0xffff
	s_abs_i32 s75, s68
	v_cvt_f32_u32_e32 v5, s75
	s_abs_i32 s77, s10
	s_abs_i32 s78, s9
	v_cvt_f32_u32_e32 v1, s77
	v_cvt_f32_u32_e32 v3, s78
	s_abs_i32 s81, s18
	v_rcp_iflag_f32_e32 v5, v5
	s_ashr_i32 s79, s17, 31
	s_abs_i32 s17, s17
	s_abs_i32 s83, s19
	v_cvt_f32_u32_e32 v7, s81
	v_rcp_iflag_f32_e32 v1, v1
	v_rcp_iflag_f32_e32 v3, v3
	v_cvt_f32_u32_e32 v6, s17
	v_cvt_f32_u32_e32 v8, s83
	v_cmp_neq_f64_e64 s[42:43], s[28:29], 1.0
	v_cmp_neq_f64_e64 s[44:45], s[30:31], 0
	v_mul_f32_e32 v5, 0x4f7ffffe, v5
	v_cvt_u32_f32_e32 v9, v5
	v_rcp_iflag_f32_e32 v5, v7
	v_mul_f32_e32 v1, 0x4f7ffffe, v1
	v_mul_f32_e32 v3, 0x4f7ffffe, v3
	v_rcp_iflag_f32_e32 v6, v6
	v_rcp_iflag_f32_e32 v7, v8
	v_cvt_u32_f32_e32 v1, v1
	v_cvt_u32_f32_e32 v3, v3
	s_mul_hi_u32 s47, s58, s8
	s_add_i32 s46, s47, s46
	s_mul_i32 s47, s59, s8
	v_mul_f32_e32 v5, 0x4f7ffffe, v5
	s_add_i32 s47, s46, s47
	s_mul_i32 s46, s58, s8
	s_sub_i32 s8, 0, s77
	s_sub_i32 s9, 0, s78
	v_mul_f32_e32 v6, 0x4f7ffffe, v6
	v_cvt_u32_f32_e32 v11, v5
	v_mul_f32_e32 v5, 0x4f7ffffe, v7
	v_mul_lo_u32 v2, s8, v1
	v_mul_lo_u32 v4, s9, v3
	v_cvt_u32_f32_e32 v10, v6
	v_cvt_u32_f32_e32 v12, v5
	s_or_b64 s[42:43], s[42:43], s[44:45]
	s_mul_i32 s44, s54, s74
	s_mul_hi_u32 s45, s54, s69
	s_add_i32 s44, s45, s44
	s_mul_i32 s45, s55, s69
	s_add_i32 s45, s44, s45
	s_mul_i32 s44, s54, s69
	s_sub_i32 s54, 0, s75
	s_sub_i32 s55, 0, s17
	s_ashr_i32 s80, s18, 31
	s_sub_i32 s18, 0, s81
	s_ashr_i32 s82, s19, 31
	s_sub_i32 s19, 0, s83
	v_mul_lo_u32 v8, s54, v9
	v_mul_lo_u32 v13, s55, v10
	;; [unrolled: 1-line block ×4, first 2 shown]
	v_mul_hi_u32 v2, v1, v2
	v_mul_hi_u32 v4, v3, v4
	s_ashr_i32 s74, s68, 31
	s_lshl_b64 s[44:45], s[44:45], 1
	s_lshl_b64 s[46:47], s[46:47], 1
	s_ashr_i32 s76, s10, 31
	v_add_u32_e32 v5, v1, v2
	v_add_u32_e32 v7, v3, v4
	v_mul_hi_u32 v1, v9, v8
	v_mul_hi_u32 v2, v10, v13
	;; [unrolled: 1-line block ×4, first 2 shown]
	s_add_u32 s44, s44, s46
	s_addc_u32 s45, s45, s47
	s_add_u32 s8, s26, s44
	s_addc_u32 s9, s27, s45
	v_mov_b32_e32 v6, 0
	v_add_u32_e32 v8, v9, v1
	v_add_u32_e32 v9, v10, v2
	;; [unrolled: 1-line block ×4, first 2 shown]
	v_mov_b32_e32 v12, 0x7c00
	v_mov_b32_e32 v13, 0x7e00
	s_movk_i32 s84, 0x1ff
	s_movk_i32 s85, 0xffe
	;; [unrolled: 1-line block ×3, first 2 shown]
	s_mov_b32 s87, 0x8000
	s_mov_b64 s[18:19], 0
	s_lshl_b64 s[26:27], s[56:57], 1
	s_lshl_b64 s[44:45], s[52:53], 1
	;; [unrolled: 1-line block ×4, first 2 shown]
	s_branch .LBB71_3
.LBB71_2:                               ;   in Loop: Header=BB71_3 Depth=1
	v_add_u32_e32 v0, s73, v0
	v_cmp_le_i32_e32 vcc, s11, v0
	s_or_b64 s[18:19], vcc, s[18:19]
	s_andn2_b64 exec, exec, s[18:19]
	s_cbranch_execz .LBB71_38
.LBB71_3:                               ; =>This Loop Header: Depth=1
                                        ;     Child Loop BB71_6 Depth 2
                                        ;       Child Loop BB71_9 Depth 3
                                        ;         Child Loop BB71_18 Depth 4
                                        ;           Child Loop BB71_25 Depth 5
	v_sub_u32_e32 v1, 0, v0
	v_max_i32_e32 v1, v0, v1
	v_mul_hi_u32 v2, v1, v5
	v_ashrrev_i32_e32 v14, 31, v0
	v_xor_b32_e32 v4, s76, v14
	v_mul_hi_u32 v17, v1, v8
	v_mul_lo_u32 v3, v2, s77
	v_add_u32_e32 v15, 1, v2
	v_sub_u32_e32 v3, v1, v3
	v_cmp_le_u32_e32 vcc, s77, v3
	v_cndmask_b32_e32 v2, v2, v15, vcc
	v_subrev_u32_e32 v15, s77, v3
	v_cndmask_b32_e32 v3, v3, v15, vcc
	v_add_u32_e32 v15, 1, v2
	v_cmp_le_u32_e32 vcc, s77, v3
	v_cndmask_b32_e32 v2, v2, v15, vcc
	v_xor_b32_e32 v2, v2, v4
	v_sub_u32_e32 v2, v2, v4
	v_sub_u32_e32 v3, 0, v2
	v_max_i32_e32 v4, v2, v3
	v_mul_hi_u32 v3, v4, v7
	v_mul_lo_u32 v15, v2, s10
	v_ashrrev_i32_e32 v2, 31, v2
	v_mul_lo_u32 v16, v3, s78
	v_sub_u32_e32 v3, v0, v15
	v_sub_u32_e32 v4, v4, v16
	v_subrev_u32_e32 v15, s78, v4
	v_cmp_le_u32_e32 vcc, s78, v4
	v_cndmask_b32_e32 v4, v4, v15, vcc
	v_subrev_u32_e32 v15, s78, v4
	v_cmp_le_u32_e32 vcc, s78, v4
	v_cndmask_b32_e32 v4, v4, v15, vcc
	v_mul_lo_u32 v15, v17, s75
	v_xor_b32_e32 v4, v4, v2
	v_sub_u32_e32 v4, v4, v2
	v_xor_b32_e32 v2, s74, v14
	v_sub_u32_e32 v1, v1, v15
	v_add_u32_e32 v14, 1, v17
	v_cmp_le_u32_e32 vcc, s75, v1
	v_subrev_u32_e32 v15, s75, v1
	v_cndmask_b32_e32 v14, v17, v14, vcc
	v_cndmask_b32_e32 v1, v1, v15, vcc
	v_add_u32_e32 v15, 1, v14
	v_cmp_le_u32_e32 vcc, s75, v1
	v_cndmask_b32_e32 v1, v14, v15, vcc
	v_xor_b32_e32 v1, v1, v2
	s_andn2_b64 vcc, exec, s[6:7]
	v_sub_u32_e32 v14, v1, v2
	s_cbranch_vccnz .LBB71_33
; %bb.4:                                ;   in Loop: Header=BB71_3 Depth=1
	v_mov_b32_e32 v1, 0
	v_add_u32_e32 v15, s23, v14
	v_add_u32_e32 v16, s0, v4
	;; [unrolled: 1-line block ×3, first 2 shown]
	v_mov_b32_e32 v2, 0
	s_mov_b32 s88, 0
	s_mov_b64 s[50:51], s[8:9]
	s_branch .LBB71_6
.LBB71_5:                               ;   in Loop: Header=BB71_6 Depth=2
	s_add_i32 s88, s88, 1
	s_add_u32 s50, s50, s26
	s_addc_u32 s51, s51, s27
	s_cmp_eq_u32 s88, s12
	s_cbranch_scc1 .LBB71_34
.LBB71_6:                               ;   Parent Loop BB71_3 Depth=1
                                        ; =>  This Loop Header: Depth=2
                                        ;       Child Loop BB71_9 Depth 3
                                        ;         Child Loop BB71_18 Depth 4
                                        ;           Child Loop BB71_25 Depth 5
	s_andn2_b64 vcc, exec, s[24:25]
	s_cbranch_vccnz .LBB71_5
; %bb.7:                                ;   in Loop: Header=BB71_6 Depth=2
	s_mul_i32 s52, s67, s88
	s_mul_hi_u32 s53, s66, s88
	s_add_i32 s53, s53, s52
	s_mul_i32 s52, s66, s88
	s_lshl_b64 s[52:53], s[52:53], 1
	s_add_u32 s89, s71, s52
	s_addc_u32 s90, s72, s53
	s_mov_b32 s91, 0
	s_mov_b64 s[52:53], s[50:51]
	s_branch .LBB71_9
.LBB71_8:                               ;   in Loop: Header=BB71_9 Depth=3
	s_add_i32 s91, s91, 1
	s_add_u32 s52, s52, s44
	s_addc_u32 s53, s53, s45
	s_cmp_eq_u32 s91, s2
	s_cbranch_scc1 .LBB71_5
.LBB71_9:                               ;   Parent Loop BB71_3 Depth=1
                                        ;     Parent Loop BB71_6 Depth=2
                                        ; =>    This Loop Header: Depth=3
                                        ;         Child Loop BB71_18 Depth 4
                                        ;           Child Loop BB71_25 Depth 5
	s_mul_i32 s54, s20, s91
	v_subrev_u32_e32 v23, s54, v15
	v_sub_u32_e32 v18, 0, v23
	v_cmp_lt_i32_e32 vcc, -1, v23
	s_mov_b64 s[54:55], 0
	v_ashrrev_i32_e32 v19, 31, v23
	v_max_i32_e32 v22, v23, v18
                                        ; implicit-def: $vgpr18
                                        ; implicit-def: $vgpr20
                                        ; implicit-def: $vgpr21
	s_and_saveexec_b64 s[56:57], vcc
	s_xor_b64 s[56:57], exec, s[56:57]
	s_cbranch_execnz .LBB71_13
; %bb.10:                               ;   in Loop: Header=BB71_9 Depth=3
	s_andn2_saveexec_b64 s[56:57], s[56:57]
	s_cbranch_execnz .LBB71_14
.LBB71_11:                              ;   in Loop: Header=BB71_9 Depth=3
	s_or_b64 exec, exec, s[56:57]
	v_mov_b32_e32 v22, 1
	s_and_saveexec_b64 s[56:57], s[54:55]
	s_cbranch_execnz .LBB71_15
.LBB71_12:                              ;   in Loop: Header=BB71_9 Depth=3
	s_or_b64 exec, exec, s[56:57]
	s_andn2_b64 vcc, exec, s[4:5]
	s_cbranch_vccz .LBB71_16
	s_branch .LBB71_8
.LBB71_13:                              ;   in Loop: Header=BB71_9 Depth=3
	v_mul_hi_u32 v18, v22, v9
	v_ashrrev_i32_e32 v19, 31, v23
	v_mul_lo_u32 v20, v18, s17
	v_sub_u32_e32 v20, v22, v20
	v_subrev_u32_e32 v21, s17, v20
	v_cmp_le_u32_e32 vcc, s17, v20
	v_cndmask_b32_e32 v22, v20, v21, vcc
	v_subrev_u32_e32 v23, s17, v22
	v_cmp_le_u32_e32 vcc, s17, v22
	v_cndmask_b32_e32 v22, v22, v23, vcc
	v_xor_b32_e32 v22, v22, v19
	v_sub_u32_e32 v22, v22, v19
	v_cmp_ne_u32_e32 vcc, 0, v22
	s_and_b64 s[54:55], vcc, exec
                                        ; implicit-def: $vgpr22
	s_andn2_saveexec_b64 s[56:57], s[56:57]
	s_cbranch_execz .LBB71_11
.LBB71_14:                              ;   in Loop: Header=BB71_9 Depth=3
	v_mul_hi_u32 v18, v22, v9
	s_or_b64 s[54:55], s[54:55], exec
	v_mul_lo_u32 v20, v18, s17
	v_sub_u32_e32 v20, v22, v20
	v_subrev_u32_e32 v21, s17, v20
	s_or_b64 exec, exec, s[56:57]
	v_mov_b32_e32 v22, 1
	s_and_saveexec_b64 s[56:57], s[54:55]
	s_cbranch_execz .LBB71_12
.LBB71_15:                              ;   in Loop: Header=BB71_9 Depth=3
	v_mov_b32_e32 v22, 0
	s_or_b64 exec, exec, s[56:57]
	s_andn2_b64 vcc, exec, s[4:5]
	s_cbranch_vccnz .LBB71_8
.LBB71_16:                              ;   in Loop: Header=BB71_9 Depth=3
	v_add_u32_e32 v23, 1, v18
	v_cmp_le_u32_e32 vcc, s17, v20
	v_cndmask_b32_e32 v18, v18, v23, vcc
	v_cndmask_b32_e32 v20, v20, v21, vcc
	v_add_u32_e32 v21, 1, v18
	v_cmp_le_u32_e32 vcc, s17, v20
	v_xor_b32_e32 v19, s79, v19
	v_cndmask_b32_e32 v18, v18, v21, vcc
	v_xor_b32_e32 v18, v18, v19
	v_sub_u32_e32 v18, v18, v19
	v_ashrrev_i32_e32 v19, 31, v18
	v_mul_lo_u32 v21, s64, v19
	v_mul_lo_u32 v23, s65, v18
	v_mad_u64_u32 v[19:20], s[54:55], s64, v18, 0
	v_cmp_gt_i32_e32 vcc, s14, v18
	v_cndmask_b32_e32 v18, 0, v22, vcc
	v_add3_u32 v20, v20, v21, v23
	v_lshlrev_b64 v[19:20], 1, v[19:20]
	v_mov_b32_e32 v21, s90
	v_add_co_u32_e32 v19, vcc, s89, v19
	s_mov_b32 s92, 0
	v_addc_co_u32_e32 v20, vcc, v21, v20, vcc
	s_mov_b64 s[54:55], s[52:53]
	s_branch .LBB71_18
.LBB71_17:                              ;   in Loop: Header=BB71_18 Depth=4
	s_add_i32 s92, s92, 1
	s_add_u32 s54, s54, s46
	s_addc_u32 s55, s55, s47
	s_cmp_eq_u32 s92, s3
	s_cbranch_scc1 .LBB71_8
.LBB71_18:                              ;   Parent Loop BB71_3 Depth=1
                                        ;     Parent Loop BB71_6 Depth=2
                                        ;       Parent Loop BB71_9 Depth=3
                                        ; =>      This Loop Header: Depth=4
                                        ;           Child Loop BB71_25 Depth 5
	s_mul_i32 s56, s21, s92
	v_subrev_u32_e32 v21, s56, v16
	v_sub_u32_e32 v23, 0, v21
	v_cmp_gt_i32_e64 s[56:57], 0, v21
	v_cmp_lt_i32_e32 vcc, -1, v21
	v_ashrrev_i32_e32 v22, 31, v21
	v_max_i32_e32 v21, v21, v23
	s_and_saveexec_b64 s[58:59], vcc
	s_cbranch_execnz .LBB71_21
; %bb.19:                               ;   in Loop: Header=BB71_18 Depth=4
	s_or_b64 exec, exec, s[58:59]
	v_mov_b32_e32 v23, 1
	s_and_saveexec_b64 s[58:59], s[56:57]
	s_cbranch_execnz .LBB71_22
.LBB71_20:                              ;   in Loop: Header=BB71_18 Depth=4
	s_or_b64 exec, exec, s[58:59]
	s_andn2_b64 vcc, exec, s[34:35]
	s_cbranch_vccz .LBB71_23
	s_branch .LBB71_17
.LBB71_21:                              ;   in Loop: Header=BB71_18 Depth=4
	v_mul_hi_u32 v23, v21, v10
	s_andn2_b64 s[56:57], s[56:57], exec
	v_mul_lo_u32 v23, v23, s81
	v_sub_u32_e32 v23, v21, v23
	v_subrev_u32_e32 v24, s81, v23
	v_cmp_le_u32_e32 vcc, s81, v23
	v_cndmask_b32_e32 v23, v23, v24, vcc
	v_subrev_u32_e32 v24, s81, v23
	v_cmp_le_u32_e32 vcc, s81, v23
	v_cndmask_b32_e32 v23, v23, v24, vcc
	v_xor_b32_e32 v23, v23, v22
	v_sub_u32_e32 v23, v23, v22
	v_cmp_ne_u32_e32 vcc, 0, v23
	s_and_b64 s[68:69], vcc, exec
	s_or_b64 s[56:57], s[56:57], s[68:69]
	s_or_b64 exec, exec, s[58:59]
	v_mov_b32_e32 v23, 1
	s_and_saveexec_b64 s[58:59], s[56:57]
	s_cbranch_execz .LBB71_20
.LBB71_22:                              ;   in Loop: Header=BB71_18 Depth=4
	v_mov_b32_e32 v23, 0
	s_or_b64 exec, exec, s[58:59]
	s_andn2_b64 vcc, exec, s[34:35]
	s_cbranch_vccnz .LBB71_17
.LBB71_23:                              ;   in Loop: Header=BB71_18 Depth=4
	v_mul_hi_u32 v24, v21, v10
	v_xor_b32_e32 v22, s80, v22
	s_mov_b32 s93, s70
	v_mul_lo_u32 v25, v24, s81
	v_add_u32_e32 v26, 1, v24
	v_sub_u32_e32 v21, v21, v25
	v_cmp_le_u32_e32 vcc, s81, v21
	v_subrev_u32_e32 v25, s81, v21
	v_cndmask_b32_e32 v24, v24, v26, vcc
	v_cndmask_b32_e32 v21, v21, v25, vcc
	v_add_u32_e32 v25, 1, v24
	v_cmp_le_u32_e32 vcc, s81, v21
	v_cndmask_b32_e32 v21, v24, v25, vcc
	v_xor_b32_e32 v21, v21, v22
	v_sub_u32_e32 v21, v21, v22
	v_ashrrev_i32_e32 v22, 31, v21
	v_mul_lo_u32 v22, s62, v22
	v_mul_lo_u32 v26, s63, v21
	v_mad_u64_u32 v[24:25], s[56:57], s62, v21, 0
	v_cmp_gt_i32_e32 vcc, s15, v21
	v_cndmask_b32_e32 v21, 0, v23, vcc
	v_add3_u32 v25, v25, v22, v26
	v_lshlrev_b64 v[22:23], 1, v[24:25]
	v_and_b32_e32 v21, v21, v18
	v_add_co_u32_e32 v22, vcc, v19, v22
	v_addc_co_u32_e32 v23, vcc, v20, v23, vcc
	s_mov_b64 s[56:57], s[54:55]
	v_mov_b32_e32 v24, v17
	s_branch .LBB71_25
.LBB71_24:                              ;   in Loop: Header=BB71_25 Depth=5
	s_or_b64 exec, exec, s[58:59]
	s_add_i32 s93, s93, -1
	s_add_u32 s56, s56, s48
	s_addc_u32 s57, s57, s49
	s_cmp_eq_u32 s93, 0
	v_subrev_u32_e32 v24, s22, v24
	s_cbranch_scc1 .LBB71_17
.LBB71_25:                              ;   Parent Loop BB71_3 Depth=1
                                        ;     Parent Loop BB71_6 Depth=2
                                        ;       Parent Loop BB71_9 Depth=3
                                        ;         Parent Loop BB71_18 Depth=4
                                        ; =>        This Inner Loop Header: Depth=5
	v_sub_u32_e32 v25, 0, v24
	v_cmp_lt_i32_e32 vcc, -1, v24
	s_mov_b64 s[58:59], 0
	v_ashrrev_i32_e32 v26, 31, v24
	v_max_i32_e32 v29, v24, v25
                                        ; implicit-def: $vgpr25
                                        ; implicit-def: $vgpr27
                                        ; implicit-def: $vgpr28
	s_and_saveexec_b64 s[68:69], vcc
	s_xor_b64 s[68:69], exec, s[68:69]
	s_cbranch_execnz .LBB71_31
; %bb.26:                               ;   in Loop: Header=BB71_25 Depth=5
	s_andn2_saveexec_b64 s[68:69], s[68:69]
	s_cbranch_execnz .LBB71_32
.LBB71_27:                              ;   in Loop: Header=BB71_25 Depth=5
	s_or_b64 exec, exec, s[68:69]
	v_mov_b32_e32 v29, 1
	s_and_saveexec_b64 s[68:69], s[58:59]
.LBB71_28:                              ;   in Loop: Header=BB71_25 Depth=5
	v_mov_b32_e32 v29, 0
.LBB71_29:                              ;   in Loop: Header=BB71_25 Depth=5
	s_or_b64 exec, exec, s[68:69]
	v_add_u32_e32 v30, 1, v25
	v_cmp_le_u32_e32 vcc, s83, v27
	v_cndmask_b32_e32 v25, v25, v30, vcc
	v_cndmask_b32_e32 v27, v27, v28, vcc
	v_add_u32_e32 v28, 1, v25
	v_cmp_le_u32_e32 vcc, s83, v27
	v_xor_b32_e32 v26, s82, v26
	v_cndmask_b32_e32 v25, v25, v28, vcc
	v_xor_b32_e32 v25, v25, v26
	v_sub_u32_e32 v25, v25, v26
	v_cmp_gt_i32_e32 vcc, s16, v25
	v_cndmask_b32_e32 v26, 0, v29, vcc
	v_and_b32_e32 v26, v21, v26
	v_and_b32_e32 v26, 1, v26
	v_cmp_eq_u32_e32 vcc, 1, v26
	s_and_saveexec_b64 s[58:59], vcc
	s_cbranch_execz .LBB71_24
; %bb.30:                               ;   in Loop: Header=BB71_25 Depth=5
	v_ashrrev_i32_e32 v27, 31, v25
	v_mul_lo_u32 v28, s61, v25
	v_mad_u64_u32 v[25:26], s[68:69], s60, v25, 0
	v_mul_lo_u32 v27, s60, v27
	v_add3_u32 v26, v26, v27, v28
	v_lshlrev_b64 v[25:26], 1, v[25:26]
	v_add_co_u32_e32 v25, vcc, v22, v25
	v_addc_co_u32_e32 v26, vcc, v23, v26, vcc
	global_load_ushort v25, v[25:26], off
	s_nop 0
	global_load_ushort v26, v6, s[56:57]
	s_waitcnt vmcnt(1)
	v_cvt_f32_f16_e32 v25, v25
	s_waitcnt vmcnt(0)
	v_cvt_f32_f16_e32 v27, v26
	v_cvt_f64_f32_e32 v[25:26], v25
	v_cvt_f64_f32_e32 v[27:28], v27
	v_fma_f64 v[1:2], v[25:26], v[27:28], v[1:2]
	s_branch .LBB71_24
.LBB71_31:                              ;   in Loop: Header=BB71_25 Depth=5
	v_mul_hi_u32 v25, v29, v11
	v_ashrrev_i32_e32 v26, 31, v24
	v_mul_lo_u32 v27, v25, s83
	v_sub_u32_e32 v27, v29, v27
	v_subrev_u32_e32 v28, s83, v27
	v_cmp_le_u32_e32 vcc, s83, v27
	v_cndmask_b32_e32 v29, v27, v28, vcc
	v_subrev_u32_e32 v30, s83, v29
	v_cmp_le_u32_e32 vcc, s83, v29
	v_cndmask_b32_e32 v29, v29, v30, vcc
	v_xor_b32_e32 v29, v29, v26
	v_sub_u32_e32 v29, v29, v26
	v_cmp_ne_u32_e32 vcc, 0, v29
	s_and_b64 s[58:59], vcc, exec
                                        ; implicit-def: $vgpr29
	s_andn2_saveexec_b64 s[68:69], s[68:69]
	s_cbranch_execz .LBB71_27
.LBB71_32:                              ;   in Loop: Header=BB71_25 Depth=5
	v_mul_hi_u32 v25, v29, v11
	s_or_b64 s[58:59], s[58:59], exec
	v_mul_lo_u32 v27, v25, s83
	v_sub_u32_e32 v27, v29, v27
	v_subrev_u32_e32 v28, s83, v27
	s_or_b64 exec, exec, s[68:69]
	v_mov_b32_e32 v29, 1
	s_and_saveexec_b64 s[68:69], s[58:59]
	s_cbranch_execnz .LBB71_28
	s_branch .LBB71_29
.LBB71_33:                              ;   in Loop: Header=BB71_3 Depth=1
	v_mov_b32_e32 v1, 0
	v_mov_b32_e32 v2, 0
.LBB71_34:                              ;   in Loop: Header=BB71_3 Depth=1
	v_ashrrev_i32_e32 v15, 31, v3
	v_mul_lo_u32 v17, s37, v3
	v_mul_lo_u32 v18, s36, v15
	v_mad_u64_u32 v[15:16], s[50:51], s36, v3, 0
	v_ashrrev_i32_e32 v3, 31, v4
	v_mul_lo_u32 v3, s38, v3
	v_add3_u32 v16, v16, v18, v17
	v_mad_u64_u32 v[15:16], s[50:51], s38, v4, v[15:16]
	v_mul_lo_u32 v4, s39, v4
	v_ashrrev_i32_e32 v17, 31, v14
	s_and_b64 vcc, exec, s[42:43]
	v_add3_u32 v16, v4, v16, v3
	v_mad_u64_u32 v[3:4], s[50:51], s40, v14, v[15:16]
	v_mul_lo_u32 v14, s41, v14
	v_mul_lo_u32 v15, s40, v17
	s_mov_b64 s[50:51], -1
	v_add3_u32 v4, v14, v4, v15
	v_lshlrev_b64 v[3:4], 1, v[3:4]
	s_cbranch_vccz .LBB71_36
; %bb.35:                               ;   in Loop: Header=BB71_3 Depth=1
	v_mov_b32_e32 v15, s33
	v_add_co_u32_e32 v14, vcc, s13, v3
	v_addc_co_u32_e32 v15, vcc, v15, v4, vcc
	global_load_ushort v16, v[14:15], off
	s_mov_b64 s[50:51], 0
	s_waitcnt vmcnt(0)
	v_cvt_f32_f16_e32 v16, v16
	v_cvt_f64_f32_e32 v[16:17], v16
	v_mul_f64 v[16:17], s[30:31], v[16:17]
	v_fma_f64 v[16:17], s[28:29], v[1:2], v[16:17]
	v_and_or_b32 v16, v17, s84, v16
	v_cmp_ne_u32_e32 vcc, 0, v16
	v_lshrrev_b32_e32 v18, 8, v17
	v_bfe_u32 v19, v17, 20, 11
	v_cndmask_b32_e64 v16, 0, 1, vcc
	v_sub_u32_e32 v20, 0x3f1, v19
	v_and_or_b32 v16, v18, s85, v16
	v_med3_i32 v18, v20, 0, 13
	v_or_b32_e32 v20, 0x1000, v16
	v_lshrrev_b32_e32 v22, v18, v20
	v_add_u32_e32 v19, 0xfffffc10, v19
	v_cmp_ne_u32_e32 vcc, 0, v16
	v_lshlrev_b32_e32 v18, v18, v22
	v_lshl_or_b32 v21, v19, 12, v16
	v_cndmask_b32_e32 v16, v12, v13, vcc
	v_cmp_ne_u32_e32 vcc, v18, v20
	v_cndmask_b32_e64 v18, 0, 1, vcc
	v_or_b32_e32 v18, v22, v18
	v_cmp_gt_i32_e32 vcc, 1, v19
	v_cndmask_b32_e32 v18, v21, v18, vcc
	v_and_b32_e32 v20, 7, v18
	v_cmp_lt_i32_e32 vcc, 5, v20
	v_cndmask_b32_e64 v21, 0, 1, vcc
	v_cmp_eq_u32_e32 vcc, 3, v20
	v_cndmask_b32_e64 v20, 0, 1, vcc
	v_lshrrev_b32_e32 v18, 2, v18
	v_or_b32_e32 v20, v20, v21
	v_add_u32_e32 v18, v18, v20
	v_cmp_gt_i32_e32 vcc, 31, v19
	v_cndmask_b32_e32 v18, v12, v18, vcc
	v_cmp_eq_u32_e32 vcc, s86, v19
	v_lshrrev_b32_e32 v17, 16, v17
	v_cndmask_b32_e32 v16, v18, v16, vcc
	v_and_or_b32 v16, v17, s87, v16
	global_store_short v[14:15], v16, off
.LBB71_36:                              ;   in Loop: Header=BB71_3 Depth=1
	s_andn2_b64 vcc, exec, s[50:51]
	s_cbranch_vccnz .LBB71_2
; %bb.37:                               ;   in Loop: Header=BB71_3 Depth=1
	v_and_or_b32 v1, v2, s84, v1
	v_cmp_ne_u32_e32 vcc, 0, v1
	v_cndmask_b32_e64 v1, 0, 1, vcc
	v_lshrrev_b32_e32 v14, 8, v2
	v_bfe_u32 v15, v2, 20, 11
	v_and_or_b32 v1, v14, s85, v1
	v_sub_u32_e32 v16, 0x3f1, v15
	v_or_b32_e32 v14, 0x1000, v1
	v_med3_i32 v16, v16, 0, 13
	v_lshrrev_b32_e32 v17, v16, v14
	v_lshlrev_b32_e32 v16, v16, v17
	v_cmp_ne_u32_e32 vcc, v16, v14
	v_cndmask_b32_e64 v14, 0, 1, vcc
	v_add_u32_e32 v15, 0xfffffc10, v15
	v_or_b32_e32 v14, v17, v14
	v_lshl_or_b32 v16, v15, 12, v1
	v_cmp_gt_i32_e32 vcc, 1, v15
	v_cndmask_b32_e32 v14, v16, v14, vcc
	v_and_b32_e32 v16, 7, v14
	v_cmp_lt_i32_e32 vcc, 5, v16
	v_cndmask_b32_e64 v17, 0, 1, vcc
	v_cmp_eq_u32_e32 vcc, 3, v16
	v_cndmask_b32_e64 v16, 0, 1, vcc
	v_or_b32_e32 v16, v16, v17
	v_lshrrev_b32_e32 v14, 2, v14
	v_add_u32_e32 v14, v14, v16
	v_cmp_gt_i32_e32 vcc, 31, v15
	v_cndmask_b32_e32 v14, v12, v14, vcc
	v_cmp_ne_u32_e32 vcc, 0, v1
	v_cndmask_b32_e32 v1, v12, v13, vcc
	v_cmp_eq_u32_e32 vcc, s86, v15
	v_cndmask_b32_e32 v1, v14, v1, vcc
	v_lshrrev_b32_e32 v2, 16, v2
	v_and_or_b32 v14, v2, s87, v1
	v_mov_b32_e32 v2, s33
	v_add_co_u32_e32 v1, vcc, s13, v3
	v_addc_co_u32_e32 v2, vcc, v2, v4, vcc
	global_store_short v[1:2], v14, off
	s_branch .LBB71_2
.LBB71_38:
	s_endpgm
	.section	.rodata,"a",@progbits
	.p2align	6, 0x0
	.amdhsa_kernel naive_conv_ab_nonpacked_bwd_ncdhw_half_double_half
		.amdhsa_group_segment_fixed_size 0
		.amdhsa_private_segment_fixed_size 0
		.amdhsa_kernarg_size 528
		.amdhsa_user_sgpr_count 6
		.amdhsa_user_sgpr_private_segment_buffer 1
		.amdhsa_user_sgpr_dispatch_ptr 0
		.amdhsa_user_sgpr_queue_ptr 0
		.amdhsa_user_sgpr_kernarg_segment_ptr 1
		.amdhsa_user_sgpr_dispatch_id 0
		.amdhsa_user_sgpr_flat_scratch_init 0
		.amdhsa_user_sgpr_private_segment_size 0
		.amdhsa_uses_dynamic_stack 0
		.amdhsa_system_sgpr_private_segment_wavefront_offset 0
		.amdhsa_system_sgpr_workgroup_id_x 1
		.amdhsa_system_sgpr_workgroup_id_y 0
		.amdhsa_system_sgpr_workgroup_id_z 0
		.amdhsa_system_sgpr_workgroup_info 0
		.amdhsa_system_vgpr_workitem_id 0
		.amdhsa_next_free_vgpr 31
		.amdhsa_next_free_sgpr 94
		.amdhsa_reserve_vcc 1
		.amdhsa_reserve_flat_scratch 0
		.amdhsa_float_round_mode_32 0
		.amdhsa_float_round_mode_16_64 0
		.amdhsa_float_denorm_mode_32 3
		.amdhsa_float_denorm_mode_16_64 3
		.amdhsa_dx10_clamp 1
		.amdhsa_ieee_mode 1
		.amdhsa_fp16_overflow 0
		.amdhsa_exception_fp_ieee_invalid_op 0
		.amdhsa_exception_fp_denorm_src 0
		.amdhsa_exception_fp_ieee_div_zero 0
		.amdhsa_exception_fp_ieee_overflow 0
		.amdhsa_exception_fp_ieee_underflow 0
		.amdhsa_exception_fp_ieee_inexact 0
		.amdhsa_exception_int_div_zero 0
	.end_amdhsa_kernel
	.text
.Lfunc_end71:
	.size	naive_conv_ab_nonpacked_bwd_ncdhw_half_double_half, .Lfunc_end71-naive_conv_ab_nonpacked_bwd_ncdhw_half_double_half
                                        ; -- End function
	.set naive_conv_ab_nonpacked_bwd_ncdhw_half_double_half.num_vgpr, 31
	.set naive_conv_ab_nonpacked_bwd_ncdhw_half_double_half.num_agpr, 0
	.set naive_conv_ab_nonpacked_bwd_ncdhw_half_double_half.numbered_sgpr, 94
	.set naive_conv_ab_nonpacked_bwd_ncdhw_half_double_half.num_named_barrier, 0
	.set naive_conv_ab_nonpacked_bwd_ncdhw_half_double_half.private_seg_size, 0
	.set naive_conv_ab_nonpacked_bwd_ncdhw_half_double_half.uses_vcc, 1
	.set naive_conv_ab_nonpacked_bwd_ncdhw_half_double_half.uses_flat_scratch, 0
	.set naive_conv_ab_nonpacked_bwd_ncdhw_half_double_half.has_dyn_sized_stack, 0
	.set naive_conv_ab_nonpacked_bwd_ncdhw_half_double_half.has_recursion, 0
	.set naive_conv_ab_nonpacked_bwd_ncdhw_half_double_half.has_indirect_call, 0
	.section	.AMDGPU.csdata,"",@progbits
; Kernel info:
; codeLenInByte = 3148
; TotalNumSgprs: 98
; NumVgprs: 31
; ScratchSize: 0
; MemoryBound: 0
; FloatMode: 240
; IeeeMode: 1
; LDSByteSize: 0 bytes/workgroup (compile time only)
; SGPRBlocks: 12
; VGPRBlocks: 7
; NumSGPRsForWavesPerEU: 98
; NumVGPRsForWavesPerEU: 31
; Occupancy: 8
; WaveLimiterHint : 1
; COMPUTE_PGM_RSRC2:SCRATCH_EN: 0
; COMPUTE_PGM_RSRC2:USER_SGPR: 6
; COMPUTE_PGM_RSRC2:TRAP_HANDLER: 0
; COMPUTE_PGM_RSRC2:TGID_X_EN: 1
; COMPUTE_PGM_RSRC2:TGID_Y_EN: 0
; COMPUTE_PGM_RSRC2:TGID_Z_EN: 0
; COMPUTE_PGM_RSRC2:TIDIG_COMP_CNT: 0
	.text
	.protected	naive_conv_ab_packed_bwd_ncdhw_ushort_double_ushort ; -- Begin function naive_conv_ab_packed_bwd_ncdhw_ushort_double_ushort
	.globl	naive_conv_ab_packed_bwd_ncdhw_ushort_double_ushort
	.p2align	8
	.type	naive_conv_ab_packed_bwd_ncdhw_ushort_double_ushort,@function
naive_conv_ab_packed_bwd_ncdhw_ushort_double_ushort: ; @naive_conv_ab_packed_bwd_ncdhw_ushort_double_ushort
; %bb.0:
	s_load_dwordx16 s[8:23], s[4:5], 0xb8
	s_abs_i32 s7, s6
	s_waitcnt lgkmcnt(0)
	s_abs_i32 s1, s13
	v_cvt_f32_u32_e32 v1, s1
	s_sub_i32 s2, 0, s1
	s_mul_i32 s0, s13, s11
	s_mul_i32 s40, s10, s9
	v_rcp_iflag_f32_e32 v1, v1
	v_mul_f32_e32 v1, 0x4f7ffffe, v1
	v_cvt_u32_f32_e32 v1, v1
	v_readfirstlane_b32 s3, v1
	s_mul_i32 s2, s2, s3
	s_mul_hi_u32 s2, s3, s2
	s_add_i32 s3, s3, s2
	s_mul_hi_u32 s2, s7, s3
	s_mul_i32 s3, s2, s1
	s_sub_i32 s3, s7, s3
	s_add_i32 s24, s2, 1
	s_sub_i32 s25, s3, s1
	s_cmp_ge_u32 s3, s1
	s_cselect_b32 s2, s24, s2
	s_cselect_b32 s3, s25, s3
	s_add_i32 s24, s2, 1
	s_cmp_ge_u32 s3, s1
	s_cselect_b32 s1, s24, s2
	s_abs_i32 s38, s11
	s_abs_i32 s33, s0
	v_cvt_f32_u32_e32 v1, s38
	v_cvt_f32_u32_e32 v2, s33
	s_mul_i32 s11, s40, s8
	v_cmp_gt_i32_e32 vcc, s11, v0
	v_rcp_iflag_f32_e32 v1, v1
	v_rcp_iflag_f32_e32 v2, v2
	v_mul_f32_e32 v1, 0x4f7ffffe, v1
	v_mul_f32_e32 v2, 0x4f7ffffe, v2
	v_cvt_u32_f32_e32 v1, v1
	v_cvt_u32_f32_e32 v2, v2
	v_readfirstlane_b32 s3, v1
	v_readfirstlane_b32 s2, v2
	s_and_saveexec_b64 s[24:25], vcc
	s_cbranch_execz .LBB72_38
; %bb.1:
	s_ashr_i32 s39, s6, 31
	s_ashr_i32 s42, s13, 31
	s_xor_b32 s34, s39, s42
	s_xor_b32 s1, s1, s34
	s_sub_i32 s41, s1, s34
	s_sub_i32 s1, 0, s38
	s_mul_i32 s1, s1, s3
	s_mul_hi_u32 s1, s3, s1
	s_ashr_i32 s46, s0, 31
	s_sub_i32 s0, 0, s33
	s_abs_i32 s44, s41
	s_add_i32 s3, s3, s1
	s_mul_i32 s0, s0, s2
	s_mul_hi_u32 s45, s44, s3
	s_mul_hi_u32 s0, s2, s0
	s_add_i32 s2, s2, s0
	s_mul_i32 s45, s45, s38
	s_load_dwordx8 s[24:31], s[4:5], 0x0
	s_ashr_i32 s43, s41, 31
	s_load_dwordx2 s[34:35], s[4:5], 0x108
	s_mul_hi_u32 s47, s7, s2
	s_load_dwordx2 s[36:37], s[4:5], 0x20
	s_load_dwordx4 s[0:3], s[4:5], 0xf8
	s_load_dword s48, s[4:5], 0x11c
	s_mul_i32 s41, s41, s13
	s_sub_i32 s5, s44, s45
	s_sub_i32 s41, s6, s41
	;; [unrolled: 1-line block ×3, first 2 shown]
	s_cmp_ge_u32 s5, s38
	s_cselect_b32 s5, s6, s5
	s_sub_i32 s6, s5, s38
	s_cmp_ge_u32 s5, s38
	s_waitcnt lgkmcnt(0)
	s_mul_i32 s49, s35, s12
	s_mul_i32 s4, s35, s13
	s_cselect_b32 s5, s6, s5
	s_mul_i32 s35, s47, s33
	s_xor_b32 s5, s5, s43
	s_sub_i32 s7, s7, s35
	s_sub_i32 s6, s5, s43
	s_xor_b32 s5, s39, s46
	s_add_i32 s35, s47, 1
	s_sub_i32 s38, s7, s33
	s_cmp_ge_u32 s7, s33
	s_cselect_b32 s35, s35, s47
	s_cselect_b32 s7, s38, s7
	s_add_i32 s38, s35, 1
	s_cmp_ge_u32 s7, s33
	s_cselect_b32 s7, s38, s35
	s_xor_b32 s7, s7, s5
	s_sub_i32 s7, s7, s5
	s_mul_hi_i32 s5, s6, s4
	s_mul_i32 s4, s6, s4
	s_ashr_i32 s33, s10, 31
	s_ashr_i32 s43, s41, 31
	s_add_u32 s4, s4, s41
	s_mul_i32 s38, s7, s13
	s_addc_u32 s5, s5, s43
	s_mul_hi_i32 s35, s7, s13
	s_add_u32 s4, s4, s38
	s_addc_u32 s5, s5, s35
	s_mul_hi_i32 s35, s9, s8
	s_mul_i32 s8, s9, s8
	s_mul_i32 s38, s8, s33
	s_mul_hi_u32 s39, s8, s10
	s_add_i32 s38, s39, s38
	s_mul_i32 s35, s35, s10
	s_mul_i32 s8, s8, s10
	s_add_i32 s35, s38, s35
	s_mul_i32 s5, s8, s5
	s_mul_hi_u32 s38, s8, s4
	s_add_i32 s5, s38, s5
	s_mul_i32 s35, s35, s4
	s_add_i32 s5, s5, s35
	s_mul_i32 s4, s8, s4
	s_lshl_b64 s[4:5], s[4:5], 1
	s_add_u32 s52, s24, s4
	s_addc_u32 s53, s25, s5
	s_mul_i32 s5, s7, s12
	s_mul_hi_i32 s4, s7, s12
	s_mul_i32 s7, s5, s42
	s_mul_hi_u32 s8, s5, s13
	s_add_i32 s7, s8, s7
	s_mul_i32 s8, s4, s13
	s_add_i32 s8, s7, s8
	s_ashr_i32 s47, s2, 31
	s_ashr_i32 s35, s34, 31
	s_mul_hi_i32 s7, s6, s49
	s_mul_i32 s6, s6, s49
	s_ashr_i32 s54, s14, 31
	s_ashr_i32 s55, s15, 31
	;; [unrolled: 1-line block ×3, first 2 shown]
	s_add_u32 s6, s5, s6
	s_addc_u32 s4, s4, s7
	s_mul_i32 s7, s15, s14
	s_mul_i32 s46, s5, s13
	s_mul_hi_i32 s5, s15, s14
	s_mul_i32 s24, s7, s56
	s_mul_hi_u32 s25, s7, s16
	s_add_i32 s24, s25, s24
	s_mul_i32 s5, s5, s16
	s_mul_i32 s7, s7, s16
	s_add_i32 s5, s24, s5
	s_mul_i32 s4, s7, s4
	s_mul_hi_u32 s24, s7, s6
	s_add_i32 s4, s24, s4
	s_mul_i32 s5, s5, s6
	s_add_i32 s5, s4, s5
	s_mul_i32 s4, s7, s6
	s_lshl_b64 s[4:5], s[4:5], 1
	s_add_u32 s57, s36, s4
	s_addc_u32 s58, s37, s5
	s_cmp_gt_i32 s12, 0
	s_cselect_b64 s[4:5], -1, 0
	s_cmp_gt_i32 s2, 0
	s_cselect_b64 s[6:7], -1, 0
	;; [unrolled: 2-line block ×4, first 2 shown]
	s_abs_i32 s60, s10
	s_abs_i32 s61, s9
	v_cvt_f32_u32_e32 v1, s60
	v_cvt_f32_u32_e32 v2, s61
	v_cmp_neq_f64_e64 s[38:39], s[28:29], 1.0
	v_cmp_neq_f64_e64 s[44:45], s[30:31], 0
	s_abs_i32 s63, s40
	s_abs_i32 s65, s17
	;; [unrolled: 1-line block ×4, first 2 shown]
	v_rcp_iflag_f32_e32 v1, v1
	v_rcp_iflag_f32_e32 v2, v2
	v_cvt_f32_u32_e32 v3, s63
	v_cvt_f32_u32_e32 v5, s65
	;; [unrolled: 1-line block ×4, first 2 shown]
	v_mul_f32_e32 v1, 0x4f7ffffe, v1
	v_mul_f32_e32 v2, 0x4f7ffffe, v2
	v_rcp_iflag_f32_e32 v3, v3
	v_rcp_iflag_f32_e32 v5, v5
	;; [unrolled: 1-line block ×4, first 2 shown]
	v_cvt_u32_f32_e32 v1, v1
	v_cvt_u32_f32_e32 v2, v2
	s_or_b64 s[38:39], s[38:39], s[44:45]
	s_and_b32 s59, s48, 0xffff
	s_sub_i32 s44, 0, s60
	s_ashr_i32 s62, s40, 31
	s_sub_i32 s45, 0, s61
	s_sub_i32 s48, 0, s63
	s_ashr_i32 s64, s17, 31
	s_sub_i32 s17, 0, s65
	s_ashr_i32 s66, s18, 31
	;; [unrolled: 2-line block ×3, first 2 shown]
	s_sub_i32 s50, 0, s69
	s_add_u32 s18, s46, s41
	s_mul_i32 s40, s34, s3
	v_mul_f32_e32 v3, 0x4f7ffffe, v3
	v_mul_f32_e32 v5, 0x4f7ffffe, v5
	;; [unrolled: 1-line block ×4, first 2 shown]
	s_addc_u32 s8, s8, s43
	s_mul_i32 s43, s40, s2
	v_mul_lo_u32 v4, s44, v1
	v_mul_lo_u32 v6, s45, v2
	v_cvt_u32_f32_e32 v3, v3
	v_cvt_u32_f32_e32 v5, v5
	;; [unrolled: 1-line block ×4, first 2 shown]
	s_mul_i32 s8, s43, s8
	s_mul_hi_u32 s19, s43, s18
	s_add_i32 s8, s19, s8
	s_mul_i32 s19, s40, s47
	s_mul_hi_u32 s41, s40, s2
	s_add_i32 s19, s41, s19
	s_mul_hi_i32 s41, s34, s3
	s_mul_i32 s46, s41, s2
	v_mul_lo_u32 v12, s48, v3
	v_mul_lo_u32 v13, s17, v5
	;; [unrolled: 1-line block ×4, first 2 shown]
	v_mul_hi_u32 v4, v1, v4
	v_mul_hi_u32 v6, v2, v6
	s_add_i32 s46, s19, s46
	s_mul_i32 s19, s46, s18
	s_add_i32 s19, s8, s19
	s_mul_i32 s18, s43, s18
	s_lshl_b64 s[18:19], s[18:19], 1
	v_add_u32_e32 v9, v1, v4
	v_add_u32_e32 v11, v2, v6
	v_mul_hi_u32 v1, v3, v12
	v_mul_hi_u32 v2, v5, v13
	v_mul_hi_u32 v4, v7, v14
	v_mul_hi_u32 v6, v8, v15
	s_add_u32 s18, s26, s18
	s_mul_i32 s8, s43, s42
	s_mul_hi_u32 s17, s43, s13
	s_addc_u32 s19, s27, s19
	s_add_i32 s8, s17, s8
	s_mul_i32 s46, s46, s13
	s_add_i32 s27, s8, s46
	s_mul_i32 s26, s43, s13
	v_mov_b32_e32 v10, 0
	v_add_u32_e32 v12, v3, v1
	v_add_u32_e32 v13, v5, v2
	v_add_u32_e32 v14, v7, v4
	v_add_u32_e32 v15, v8, v6
	s_lshl_b64 s[26:27], s[26:27], 1
	s_lshl_b64 s[40:41], s[40:41], 1
	s_mov_b32 s13, s9
	s_mov_b32 s70, s14
	;; [unrolled: 1-line block ×5, first 2 shown]
	s_mov_b64 s[8:9], 0
	s_lshl_b64 s[14:15], s[34:35], 1
	s_branch .LBB72_3
.LBB72_2:                               ;   in Loop: Header=BB72_3 Depth=1
	v_add_u32_e32 v0, s59, v0
	v_cmp_le_i32_e32 vcc, s11, v0
	s_or_b64 s[8:9], vcc, s[8:9]
	s_andn2_b64 exec, exec, s[8:9]
	s_cbranch_execz .LBB72_38
.LBB72_3:                               ; =>This Loop Header: Depth=1
                                        ;     Child Loop BB72_6 Depth 2
                                        ;       Child Loop BB72_9 Depth 3
                                        ;         Child Loop BB72_18 Depth 4
                                        ;           Child Loop BB72_25 Depth 5
	v_sub_u32_e32 v1, 0, v0
	v_max_i32_e32 v1, v0, v1
	v_mul_hi_u32 v2, v1, v9
	v_ashrrev_i32_e32 v5, 31, v0
	v_xor_b32_e32 v4, s33, v5
	v_mul_hi_u32 v8, v1, v12
	v_mul_lo_u32 v3, v2, s60
	v_add_u32_e32 v6, 1, v2
	v_sub_u32_e32 v3, v1, v3
	v_cmp_le_u32_e32 vcc, s60, v3
	v_cndmask_b32_e32 v2, v2, v6, vcc
	v_subrev_u32_e32 v6, s60, v3
	v_cndmask_b32_e32 v3, v3, v6, vcc
	v_add_u32_e32 v6, 1, v2
	v_cmp_le_u32_e32 vcc, s60, v3
	v_cndmask_b32_e32 v2, v2, v6, vcc
	v_xor_b32_e32 v2, v2, v4
	v_sub_u32_e32 v2, v2, v4
	v_sub_u32_e32 v3, 0, v2
	v_max_i32_e32 v4, v2, v3
	v_mul_hi_u32 v3, v4, v11
	v_mul_lo_u32 v6, v2, s10
	v_ashrrev_i32_e32 v2, 31, v2
	v_mul_lo_u32 v7, v3, s61
	v_sub_u32_e32 v3, v0, v6
	v_sub_u32_e32 v4, v4, v7
	v_subrev_u32_e32 v6, s61, v4
	v_cmp_le_u32_e32 vcc, s61, v4
	v_cndmask_b32_e32 v4, v4, v6, vcc
	v_subrev_u32_e32 v6, s61, v4
	v_cmp_le_u32_e32 vcc, s61, v4
	v_cndmask_b32_e32 v4, v4, v6, vcc
	v_mul_lo_u32 v6, v8, s63
	v_xor_b32_e32 v4, v4, v2
	v_sub_u32_e32 v4, v4, v2
	v_xor_b32_e32 v2, s62, v5
	v_sub_u32_e32 v1, v1, v6
	v_add_u32_e32 v5, 1, v8
	v_cmp_le_u32_e32 vcc, s63, v1
	v_subrev_u32_e32 v6, s63, v1
	v_cndmask_b32_e32 v5, v8, v5, vcc
	v_cndmask_b32_e32 v1, v1, v6, vcc
	v_add_u32_e32 v6, 1, v5
	v_cmp_le_u32_e32 vcc, s63, v1
	v_cndmask_b32_e32 v1, v5, v6, vcc
	v_xor_b32_e32 v1, v1, v2
	s_andn2_b64 vcc, exec, s[4:5]
	v_sub_u32_e32 v16, v1, v2
	s_cbranch_vccnz .LBB72_33
; %bb.4:                                ;   in Loop: Header=BB72_3 Depth=1
	v_mov_b32_e32 v1, 0
	v_add_u32_e32 v17, s23, v16
	v_add_u32_e32 v18, s0, v4
	;; [unrolled: 1-line block ×3, first 2 shown]
	v_mov_b32_e32 v2, 0
	s_mov_b32 s35, 0
	s_mov_b64 s[16:17], s[18:19]
	s_branch .LBB72_6
.LBB72_5:                               ;   in Loop: Header=BB72_6 Depth=2
	s_add_i32 s35, s35, 1
	s_add_u32 s16, s16, s26
	s_addc_u32 s17, s17, s27
	s_cmp_eq_u32 s35, s12
	s_cbranch_scc1 .LBB72_34
.LBB72_6:                               ;   Parent Loop BB72_3 Depth=1
                                        ; =>  This Loop Header: Depth=2
                                        ;       Child Loop BB72_9 Depth 3
                                        ;         Child Loop BB72_18 Depth 4
                                        ;           Child Loop BB72_25 Depth 5
	s_andn2_b64 vcc, exec, s[6:7]
	s_cbranch_vccnz .LBB72_5
; %bb.7:                                ;   in Loop: Header=BB72_6 Depth=2
	s_mul_i32 s42, s35, s54
	s_mul_hi_u32 s43, s35, s70
	s_add_i32 s74, s43, s42
	s_mul_i32 s75, s35, s70
	s_mov_b32 s76, 0
	s_mov_b64 s[42:43], s[16:17]
	s_branch .LBB72_9
.LBB72_8:                               ;   in Loop: Header=BB72_9 Depth=3
	s_add_i32 s76, s76, 1
	s_add_u32 s42, s42, s40
	s_addc_u32 s43, s43, s41
	s_cmp_eq_u32 s76, s2
	s_cbranch_scc1 .LBB72_5
.LBB72_9:                               ;   Parent Loop BB72_3 Depth=1
                                        ;     Parent Loop BB72_6 Depth=2
                                        ; =>    This Loop Header: Depth=3
                                        ;         Child Loop BB72_18 Depth 4
                                        ;           Child Loop BB72_25 Depth 5
	s_mul_i32 s44, s20, s76
	v_subrev_u32_e32 v21, s44, v17
	v_sub_u32_e32 v5, 0, v21
	v_cmp_lt_i32_e32 vcc, -1, v21
	s_mov_b64 s[44:45], 0
	v_ashrrev_i32_e32 v6, 31, v21
	v_max_i32_e32 v20, v21, v5
                                        ; implicit-def: $vgpr5
                                        ; implicit-def: $vgpr7
                                        ; implicit-def: $vgpr8
	s_and_saveexec_b64 s[46:47], vcc
	s_xor_b64 s[46:47], exec, s[46:47]
	s_cbranch_execnz .LBB72_13
; %bb.10:                               ;   in Loop: Header=BB72_9 Depth=3
	s_andn2_saveexec_b64 s[46:47], s[46:47]
	s_cbranch_execnz .LBB72_14
.LBB72_11:                              ;   in Loop: Header=BB72_9 Depth=3
	s_or_b64 exec, exec, s[46:47]
	v_mov_b32_e32 v20, 1
	s_and_saveexec_b64 s[46:47], s[44:45]
	s_cbranch_execnz .LBB72_15
.LBB72_12:                              ;   in Loop: Header=BB72_9 Depth=3
	s_or_b64 exec, exec, s[46:47]
	s_andn2_b64 vcc, exec, s[24:25]
	s_cbranch_vccz .LBB72_16
	s_branch .LBB72_8
.LBB72_13:                              ;   in Loop: Header=BB72_9 Depth=3
	v_mul_hi_u32 v5, v20, v13
	v_ashrrev_i32_e32 v6, 31, v21
	v_mul_lo_u32 v7, v5, s65
	v_sub_u32_e32 v7, v20, v7
	v_subrev_u32_e32 v8, s65, v7
	v_cmp_le_u32_e32 vcc, s65, v7
	v_cndmask_b32_e32 v20, v7, v8, vcc
	v_subrev_u32_e32 v21, s65, v20
	v_cmp_le_u32_e32 vcc, s65, v20
	v_cndmask_b32_e32 v20, v20, v21, vcc
	v_xor_b32_e32 v20, v20, v6
	v_sub_u32_e32 v20, v20, v6
	v_cmp_ne_u32_e32 vcc, 0, v20
	s_and_b64 s[44:45], vcc, exec
                                        ; implicit-def: $vgpr20
	s_andn2_saveexec_b64 s[46:47], s[46:47]
	s_cbranch_execz .LBB72_11
.LBB72_14:                              ;   in Loop: Header=BB72_9 Depth=3
	v_mul_hi_u32 v5, v20, v13
	s_or_b64 s[44:45], s[44:45], exec
	v_mul_lo_u32 v7, v5, s65
	v_sub_u32_e32 v7, v20, v7
	v_subrev_u32_e32 v8, s65, v7
	s_or_b64 exec, exec, s[46:47]
	v_mov_b32_e32 v20, 1
	s_and_saveexec_b64 s[46:47], s[44:45]
	s_cbranch_execz .LBB72_12
.LBB72_15:                              ;   in Loop: Header=BB72_9 Depth=3
	v_mov_b32_e32 v20, 0
	s_or_b64 exec, exec, s[46:47]
	s_andn2_b64 vcc, exec, s[24:25]
	s_cbranch_vccnz .LBB72_8
.LBB72_16:                              ;   in Loop: Header=BB72_9 Depth=3
	v_add_u32_e32 v21, 1, v5
	v_cmp_le_u32_e32 vcc, s65, v7
	v_cndmask_b32_e32 v5, v5, v21, vcc
	v_cndmask_b32_e32 v7, v7, v8, vcc
	v_add_u32_e32 v8, 1, v5
	v_cmp_le_u32_e32 vcc, s65, v7
	v_xor_b32_e32 v6, s64, v6
	v_cndmask_b32_e32 v5, v5, v8, vcc
	v_xor_b32_e32 v5, v5, v6
	v_sub_u32_e32 v7, v5, v6
	v_ashrrev_i32_e32 v5, 31, v7
	v_mov_b32_e32 v6, s74
	v_add_co_u32_e32 v8, vcc, s75, v7
	v_addc_co_u32_e32 v5, vcc, v6, v5, vcc
	v_mul_lo_u32 v21, v5, s71
	v_mul_lo_u32 v22, v8, s55
	v_mad_u64_u32 v[5:6], s[44:45], v8, s71, 0
	v_cmp_gt_i32_e32 vcc, s70, v7
	s_mov_b32 s77, 0
	v_cndmask_b32_e32 v20, 0, v20, vcc
	v_add3_u32 v6, v6, v22, v21
	s_mov_b64 s[44:45], s[42:43]
	s_branch .LBB72_18
.LBB72_17:                              ;   in Loop: Header=BB72_18 Depth=4
	s_add_i32 s77, s77, 1
	s_add_u32 s44, s44, s14
	s_addc_u32 s45, s45, s15
	s_cmp_eq_u32 s77, s3
	s_cbranch_scc1 .LBB72_8
.LBB72_18:                              ;   Parent Loop BB72_3 Depth=1
                                        ;     Parent Loop BB72_6 Depth=2
                                        ;       Parent Loop BB72_9 Depth=3
                                        ; =>      This Loop Header: Depth=4
                                        ;           Child Loop BB72_25 Depth 5
	s_mul_i32 s46, s21, s77
	v_subrev_u32_e32 v7, s46, v18
	v_sub_u32_e32 v21, 0, v7
	v_cmp_gt_i32_e64 s[46:47], 0, v7
	v_cmp_lt_i32_e32 vcc, -1, v7
	v_ashrrev_i32_e32 v8, 31, v7
	v_max_i32_e32 v7, v7, v21
	s_and_saveexec_b64 s[48:49], vcc
	s_cbranch_execnz .LBB72_21
; %bb.19:                               ;   in Loop: Header=BB72_18 Depth=4
	s_or_b64 exec, exec, s[48:49]
	v_mov_b32_e32 v21, 1
	s_and_saveexec_b64 s[48:49], s[46:47]
	s_cbranch_execnz .LBB72_22
.LBB72_20:                              ;   in Loop: Header=BB72_18 Depth=4
	s_or_b64 exec, exec, s[48:49]
	s_andn2_b64 vcc, exec, s[36:37]
	s_cbranch_vccz .LBB72_23
	s_branch .LBB72_17
.LBB72_21:                              ;   in Loop: Header=BB72_18 Depth=4
	v_mul_hi_u32 v21, v7, v14
	s_andn2_b64 s[46:47], s[46:47], exec
	v_mul_lo_u32 v21, v21, s67
	v_sub_u32_e32 v21, v7, v21
	v_subrev_u32_e32 v22, s67, v21
	v_cmp_le_u32_e32 vcc, s67, v21
	v_cndmask_b32_e32 v21, v21, v22, vcc
	v_subrev_u32_e32 v22, s67, v21
	v_cmp_le_u32_e32 vcc, s67, v21
	v_cndmask_b32_e32 v21, v21, v22, vcc
	v_xor_b32_e32 v21, v21, v8
	v_sub_u32_e32 v21, v21, v8
	v_cmp_ne_u32_e32 vcc, 0, v21
	s_and_b64 s[50:51], vcc, exec
	s_or_b64 s[46:47], s[46:47], s[50:51]
	s_or_b64 exec, exec, s[48:49]
	v_mov_b32_e32 v21, 1
	s_and_saveexec_b64 s[48:49], s[46:47]
	s_cbranch_execz .LBB72_20
.LBB72_22:                              ;   in Loop: Header=BB72_18 Depth=4
	v_mov_b32_e32 v21, 0
	s_or_b64 exec, exec, s[48:49]
	s_andn2_b64 vcc, exec, s[36:37]
	s_cbranch_vccnz .LBB72_17
.LBB72_23:                              ;   in Loop: Header=BB72_18 Depth=4
	v_mul_hi_u32 v22, v7, v14
	v_xor_b32_e32 v8, s66, v8
	s_mov_b32 s78, s34
	v_mul_lo_u32 v23, v22, s67
	v_add_u32_e32 v24, 1, v22
	v_sub_u32_e32 v7, v7, v23
	v_cmp_le_u32_e32 vcc, s67, v7
	v_subrev_u32_e32 v23, s67, v7
	v_cndmask_b32_e32 v22, v22, v24, vcc
	v_cndmask_b32_e32 v7, v7, v23, vcc
	v_add_u32_e32 v23, 1, v22
	v_cmp_le_u32_e32 vcc, s67, v7
	v_cndmask_b32_e32 v7, v22, v23, vcc
	v_xor_b32_e32 v7, v7, v8
	v_sub_u32_e32 v22, v7, v8
	v_ashrrev_i32_e32 v7, 31, v22
	v_add_co_u32_e32 v8, vcc, v5, v22
	v_addc_co_u32_e32 v7, vcc, v6, v7, vcc
	v_mul_lo_u32 v23, v7, s72
	v_mul_lo_u32 v24, v8, s56
	v_mad_u64_u32 v[7:8], s[46:47], v8, s72, 0
	v_cmp_gt_i32_e32 vcc, s71, v22
	v_cndmask_b32_e32 v21, 0, v21, vcc
	v_add3_u32 v8, v8, v24, v23
	v_lshlrev_b64 v[7:8], 1, v[7:8]
	v_mov_b32_e32 v23, s58
	v_add_co_u32_e32 v22, vcc, s57, v7
	v_and_b32_e32 v21, v21, v20
	v_addc_co_u32_e32 v23, vcc, v23, v8, vcc
	s_mov_b64 s[46:47], s[44:45]
	v_mov_b32_e32 v24, v19
	s_branch .LBB72_25
.LBB72_24:                              ;   in Loop: Header=BB72_25 Depth=5
	s_or_b64 exec, exec, s[48:49]
	s_add_i32 s78, s78, -1
	s_add_u32 s46, s46, 2
	s_addc_u32 s47, s47, 0
	s_cmp_eq_u32 s78, 0
	v_subrev_u32_e32 v24, s22, v24
	s_cbranch_scc1 .LBB72_17
.LBB72_25:                              ;   Parent Loop BB72_3 Depth=1
                                        ;     Parent Loop BB72_6 Depth=2
                                        ;       Parent Loop BB72_9 Depth=3
                                        ;         Parent Loop BB72_18 Depth=4
                                        ; =>        This Inner Loop Header: Depth=5
	v_sub_u32_e32 v7, 0, v24
	v_cmp_lt_i32_e32 vcc, -1, v24
	s_mov_b64 s[48:49], 0
	v_ashrrev_i32_e32 v8, 31, v24
	v_max_i32_e32 v27, v24, v7
                                        ; implicit-def: $vgpr7
                                        ; implicit-def: $vgpr25
                                        ; implicit-def: $vgpr26
	s_and_saveexec_b64 s[50:51], vcc
	s_xor_b64 s[50:51], exec, s[50:51]
	s_cbranch_execnz .LBB72_31
; %bb.26:                               ;   in Loop: Header=BB72_25 Depth=5
	s_andn2_saveexec_b64 s[50:51], s[50:51]
	s_cbranch_execnz .LBB72_32
.LBB72_27:                              ;   in Loop: Header=BB72_25 Depth=5
	s_or_b64 exec, exec, s[50:51]
	v_mov_b32_e32 v27, 1
	s_and_saveexec_b64 s[50:51], s[48:49]
.LBB72_28:                              ;   in Loop: Header=BB72_25 Depth=5
	v_mov_b32_e32 v27, 0
.LBB72_29:                              ;   in Loop: Header=BB72_25 Depth=5
	s_or_b64 exec, exec, s[50:51]
	v_add_u32_e32 v28, 1, v7
	v_cmp_le_u32_e32 vcc, s69, v25
	v_cndmask_b32_e32 v7, v7, v28, vcc
	v_cndmask_b32_e32 v25, v25, v26, vcc
	v_add_u32_e32 v26, 1, v7
	v_cmp_le_u32_e32 vcc, s69, v25
	v_xor_b32_e32 v8, s68, v8
	v_cndmask_b32_e32 v7, v7, v26, vcc
	v_xor_b32_e32 v7, v7, v8
	v_sub_u32_e32 v7, v7, v8
	v_cmp_gt_i32_e32 vcc, s72, v7
	v_cndmask_b32_e32 v8, 0, v27, vcc
	v_and_b32_e32 v8, v21, v8
	v_and_b32_e32 v8, 1, v8
	v_cmp_eq_u32_e32 vcc, 1, v8
	s_and_saveexec_b64 s[48:49], vcc
	s_cbranch_execz .LBB72_24
; %bb.30:                               ;   in Loop: Header=BB72_25 Depth=5
	v_ashrrev_i32_e32 v8, 31, v7
	v_lshlrev_b64 v[7:8], 1, v[7:8]
	v_add_co_u32_e32 v7, vcc, v22, v7
	v_addc_co_u32_e32 v8, vcc, v23, v8, vcc
	global_load_ushort v25, v10, s[46:47]
	s_nop 0
	global_load_ushort v7, v[7:8], off
	s_waitcnt vmcnt(1)
	v_lshlrev_b32_e32 v8, 16, v25
	s_waitcnt vmcnt(0)
	v_lshlrev_b32_e32 v25, 16, v7
	v_cvt_f64_f32_e32 v[7:8], v8
	v_cvt_f64_f32_e32 v[25:26], v25
	v_fma_f64 v[1:2], v[25:26], v[7:8], v[1:2]
	s_branch .LBB72_24
.LBB72_31:                              ;   in Loop: Header=BB72_25 Depth=5
	v_mul_hi_u32 v7, v27, v15
	v_ashrrev_i32_e32 v8, 31, v24
	v_mul_lo_u32 v25, v7, s69
	v_sub_u32_e32 v25, v27, v25
	v_subrev_u32_e32 v26, s69, v25
	v_cmp_le_u32_e32 vcc, s69, v25
	v_cndmask_b32_e32 v27, v25, v26, vcc
	v_subrev_u32_e32 v28, s69, v27
	v_cmp_le_u32_e32 vcc, s69, v27
	v_cndmask_b32_e32 v27, v27, v28, vcc
	v_xor_b32_e32 v27, v27, v8
	v_sub_u32_e32 v27, v27, v8
	v_cmp_ne_u32_e32 vcc, 0, v27
	s_and_b64 s[48:49], vcc, exec
                                        ; implicit-def: $vgpr27
	s_andn2_saveexec_b64 s[50:51], s[50:51]
	s_cbranch_execz .LBB72_27
.LBB72_32:                              ;   in Loop: Header=BB72_25 Depth=5
	v_mul_hi_u32 v7, v27, v15
	s_or_b64 s[48:49], s[48:49], exec
	v_mul_lo_u32 v25, v7, s69
	v_sub_u32_e32 v25, v27, v25
	v_subrev_u32_e32 v26, s69, v25
	s_or_b64 exec, exec, s[50:51]
	v_mov_b32_e32 v27, 1
	s_and_saveexec_b64 s[50:51], s[48:49]
	s_cbranch_execnz .LBB72_28
	s_branch .LBB72_29
.LBB72_33:                              ;   in Loop: Header=BB72_3 Depth=1
	v_mov_b32_e32 v1, 0
	v_mov_b32_e32 v2, 0
.LBB72_34:                              ;   in Loop: Header=BB72_3 Depth=1
	v_ashrrev_i32_e32 v5, 31, v4
	v_mad_i64_i32 v[5:6], s[16:17], v16, s13, v[4:5]
	v_ashrrev_i32_e32 v4, 31, v3
	s_and_b64 vcc, exec, s[38:39]
	v_mad_u64_u32 v[3:4], s[16:17], v5, s10, v[3:4]
	v_mul_lo_u32 v5, v5, s33
	v_mul_lo_u32 v6, v6, s10
	s_mov_b64 s[16:17], -1
	v_add3_u32 v4, v6, v4, v5
	v_lshlrev_b64 v[3:4], 1, v[3:4]
	s_cbranch_vccz .LBB72_36
; %bb.35:                               ;   in Loop: Header=BB72_3 Depth=1
	v_mov_b32_e32 v6, s53
	v_add_co_u32_e32 v5, vcc, s52, v3
	v_addc_co_u32_e32 v6, vcc, v6, v4, vcc
	global_load_ushort v7, v[5:6], off
	s_waitcnt vmcnt(0)
	v_lshlrev_b32_e32 v7, 16, v7
	v_cvt_f64_f32_e32 v[7:8], v7
	v_mul_f64 v[7:8], s[30:31], v[7:8]
	v_fma_f64 v[7:8], s[28:29], v[1:2], v[7:8]
	v_cvt_f32_f64_e32 v7, v[7:8]
	v_and_b32_e32 v8, 0x7f800000, v7
	v_cmp_ne_u32_sdwa s[16:17], v7, v10 src0_sel:WORD_0 src1_sel:DWORD
	v_cmp_eq_u32_e32 vcc, s73, v8
	s_and_b64 s[16:17], vcc, s[16:17]
	v_cndmask_b32_e64 v8, 0, 1, s[16:17]
	v_or_b32_sdwa v7, v7, v8 dst_sel:DWORD dst_unused:UNUSED_PAD src0_sel:WORD_1 src1_sel:DWORD
	global_store_short v[5:6], v7, off
	s_mov_b64 s[16:17], 0
.LBB72_36:                              ;   in Loop: Header=BB72_3 Depth=1
	s_andn2_b64 vcc, exec, s[16:17]
	s_cbranch_vccnz .LBB72_2
; %bb.37:                               ;   in Loop: Header=BB72_3 Depth=1
	v_cvt_f32_f64_e32 v1, v[1:2]
	v_mov_b32_e32 v2, s53
	v_and_b32_e32 v5, 0x7f800000, v1
	v_cmp_ne_u32_sdwa s[16:17], v1, v10 src0_sel:WORD_0 src1_sel:DWORD
	v_cmp_eq_u32_e32 vcc, s73, v5
	s_and_b64 s[16:17], vcc, s[16:17]
	v_cndmask_b32_e64 v5, 0, 1, s[16:17]
	v_or_b32_sdwa v5, v1, v5 dst_sel:DWORD dst_unused:UNUSED_PAD src0_sel:WORD_1 src1_sel:DWORD
	v_add_co_u32_e32 v1, vcc, s52, v3
	v_addc_co_u32_e32 v2, vcc, v2, v4, vcc
	global_store_short v[1:2], v5, off
	s_branch .LBB72_2
.LBB72_38:
	s_endpgm
	.section	.rodata,"a",@progbits
	.p2align	6, 0x0
	.amdhsa_kernel naive_conv_ab_packed_bwd_ncdhw_ushort_double_ushort
		.amdhsa_group_segment_fixed_size 0
		.amdhsa_private_segment_fixed_size 0
		.amdhsa_kernarg_size 528
		.amdhsa_user_sgpr_count 6
		.amdhsa_user_sgpr_private_segment_buffer 1
		.amdhsa_user_sgpr_dispatch_ptr 0
		.amdhsa_user_sgpr_queue_ptr 0
		.amdhsa_user_sgpr_kernarg_segment_ptr 1
		.amdhsa_user_sgpr_dispatch_id 0
		.amdhsa_user_sgpr_flat_scratch_init 0
		.amdhsa_user_sgpr_private_segment_size 0
		.amdhsa_uses_dynamic_stack 0
		.amdhsa_system_sgpr_private_segment_wavefront_offset 0
		.amdhsa_system_sgpr_workgroup_id_x 1
		.amdhsa_system_sgpr_workgroup_id_y 0
		.amdhsa_system_sgpr_workgroup_id_z 0
		.amdhsa_system_sgpr_workgroup_info 0
		.amdhsa_system_vgpr_workitem_id 0
		.amdhsa_next_free_vgpr 29
		.amdhsa_next_free_sgpr 79
		.amdhsa_reserve_vcc 1
		.amdhsa_reserve_flat_scratch 0
		.amdhsa_float_round_mode_32 0
		.amdhsa_float_round_mode_16_64 0
		.amdhsa_float_denorm_mode_32 3
		.amdhsa_float_denorm_mode_16_64 3
		.amdhsa_dx10_clamp 1
		.amdhsa_ieee_mode 1
		.amdhsa_fp16_overflow 0
		.amdhsa_exception_fp_ieee_invalid_op 0
		.amdhsa_exception_fp_denorm_src 0
		.amdhsa_exception_fp_ieee_div_zero 0
		.amdhsa_exception_fp_ieee_overflow 0
		.amdhsa_exception_fp_ieee_underflow 0
		.amdhsa_exception_fp_ieee_inexact 0
		.amdhsa_exception_int_div_zero 0
	.end_amdhsa_kernel
	.text
.Lfunc_end72:
	.size	naive_conv_ab_packed_bwd_ncdhw_ushort_double_ushort, .Lfunc_end72-naive_conv_ab_packed_bwd_ncdhw_ushort_double_ushort
                                        ; -- End function
	.set naive_conv_ab_packed_bwd_ncdhw_ushort_double_ushort.num_vgpr, 29
	.set naive_conv_ab_packed_bwd_ncdhw_ushort_double_ushort.num_agpr, 0
	.set naive_conv_ab_packed_bwd_ncdhw_ushort_double_ushort.numbered_sgpr, 79
	.set naive_conv_ab_packed_bwd_ncdhw_ushort_double_ushort.num_named_barrier, 0
	.set naive_conv_ab_packed_bwd_ncdhw_ushort_double_ushort.private_seg_size, 0
	.set naive_conv_ab_packed_bwd_ncdhw_ushort_double_ushort.uses_vcc, 1
	.set naive_conv_ab_packed_bwd_ncdhw_ushort_double_ushort.uses_flat_scratch, 0
	.set naive_conv_ab_packed_bwd_ncdhw_ushort_double_ushort.has_dyn_sized_stack, 0
	.set naive_conv_ab_packed_bwd_ncdhw_ushort_double_ushort.has_recursion, 0
	.set naive_conv_ab_packed_bwd_ncdhw_ushort_double_ushort.has_indirect_call, 0
	.section	.AMDGPU.csdata,"",@progbits
; Kernel info:
; codeLenInByte = 2796
; TotalNumSgprs: 83
; NumVgprs: 29
; ScratchSize: 0
; MemoryBound: 0
; FloatMode: 240
; IeeeMode: 1
; LDSByteSize: 0 bytes/workgroup (compile time only)
; SGPRBlocks: 10
; VGPRBlocks: 7
; NumSGPRsForWavesPerEU: 83
; NumVGPRsForWavesPerEU: 29
; Occupancy: 8
; WaveLimiterHint : 1
; COMPUTE_PGM_RSRC2:SCRATCH_EN: 0
; COMPUTE_PGM_RSRC2:USER_SGPR: 6
; COMPUTE_PGM_RSRC2:TRAP_HANDLER: 0
; COMPUTE_PGM_RSRC2:TGID_X_EN: 1
; COMPUTE_PGM_RSRC2:TGID_Y_EN: 0
; COMPUTE_PGM_RSRC2:TGID_Z_EN: 0
; COMPUTE_PGM_RSRC2:TIDIG_COMP_CNT: 0
	.text
	.protected	naive_conv_ab_nonpacked_bwd_ncdhw_ushort_double_ushort ; -- Begin function naive_conv_ab_nonpacked_bwd_ncdhw_ushort_double_ushort
	.globl	naive_conv_ab_nonpacked_bwd_ncdhw_ushort_double_ushort
	.p2align	8
	.type	naive_conv_ab_nonpacked_bwd_ncdhw_ushort_double_ushort,@function
naive_conv_ab_nonpacked_bwd_ncdhw_ushort_double_ushort: ; @naive_conv_ab_nonpacked_bwd_ncdhw_ushort_double_ushort
; %bb.0:
	s_load_dwordx16 s[8:23], s[4:5], 0xb8
	s_abs_i32 s0, s6
	s_waitcnt lgkmcnt(0)
	s_abs_i32 s1, s13
	v_cvt_f32_u32_e32 v1, s1
	s_sub_i32 s2, 0, s1
	s_mul_i32 s3, s13, s11
	s_mul_i32 s68, s10, s9
	v_rcp_iflag_f32_e32 v1, v1
	v_mul_f32_e32 v1, 0x4f7ffffe, v1
	v_cvt_u32_f32_e32 v1, v1
	v_readfirstlane_b32 s7, v1
	s_mul_i32 s2, s2, s7
	s_mul_hi_u32 s2, s7, s2
	s_add_i32 s7, s7, s2
	s_mul_hi_u32 s2, s0, s7
	s_mul_i32 s7, s2, s1
	s_sub_i32 s7, s0, s7
	s_add_i32 s24, s2, 1
	s_sub_i32 s25, s7, s1
	s_cmp_ge_u32 s7, s1
	s_cselect_b32 s2, s24, s2
	s_cselect_b32 s7, s25, s7
	s_add_i32 s24, s2, 1
	s_cmp_ge_u32 s7, s1
	s_cselect_b32 s7, s24, s2
	s_abs_i32 s2, s11
	s_abs_i32 s1, s3
	v_cvt_f32_u32_e32 v1, s2
	v_cvt_f32_u32_e32 v2, s1
	s_mul_i32 s11, s68, s8
	v_cmp_gt_i32_e32 vcc, s11, v0
	v_rcp_iflag_f32_e32 v1, v1
	v_rcp_iflag_f32_e32 v2, v2
	v_mul_f32_e32 v1, 0x4f7ffffe, v1
	v_mul_f32_e32 v2, 0x4f7ffffe, v2
	v_cvt_u32_f32_e32 v1, v1
	v_cvt_u32_f32_e32 v2, v2
	v_readfirstlane_b32 s33, v1
	v_readfirstlane_b32 s8, v2
	s_and_saveexec_b64 s[24:25], vcc
	s_cbranch_execz .LBB73_38
; %bb.1:
	s_ashr_i32 s52, s6, 31
	s_ashr_i32 s36, s13, 31
	s_xor_b32 s36, s52, s36
	s_xor_b32 s7, s7, s36
	s_sub_i32 s7, s7, s36
	s_sub_i32 s36, 0, s2
	s_mul_i32 s36, s36, s33
	s_mul_hi_u32 s36, s33, s36
	s_abs_i32 s54, s7
	s_add_i32 s33, s33, s36
	s_mul_hi_u32 s33, s54, s33
	s_sub_i32 s36, 0, s1
	s_ashr_i32 s53, s7, 31
	s_mul_i32 s36, s36, s8
	s_mul_i32 s7, s7, s13
	;; [unrolled: 1-line block ×3, first 2 shown]
	s_mul_hi_u32 s36, s8, s36
	s_sub_i32 s69, s6, s7
	s_sub_i32 s6, s54, s33
	s_ashr_i32 s3, s3, 31
	s_add_i32 s8, s8, s36
	s_sub_i32 s7, s6, s2
	s_cmp_ge_u32 s6, s2
	s_cselect_b32 s6, s7, s6
	s_sub_i32 s7, s6, s2
	s_cmp_ge_u32 s6, s2
	s_cselect_b32 s2, s7, s6
	s_mul_hi_u32 s8, s0, s8
	s_xor_b32 s2, s2, s53
	s_sub_i32 s53, s2, s53
	s_xor_b32 s2, s52, s3
	s_mul_i32 s3, s8, s1
	s_sub_i32 s0, s0, s3
	s_add_i32 s3, s8, 1
	s_sub_i32 s6, s0, s1
	s_cmp_ge_u32 s0, s1
	s_cselect_b32 s3, s3, s8
	s_load_dwordx16 s[36:51], s[4:5], 0x28
	s_cselect_b32 s0, s6, s0
	s_add_i32 s6, s3, 1
	s_cmp_ge_u32 s0, s1
	s_cselect_b32 s0, s6, s3
	s_xor_b32 s0, s0, s2
	s_sub_i32 s8, s0, s2
	s_ashr_i32 s52, s53, 31
	s_load_dwordx8 s[24:31], s[4:5], 0x0
	s_load_dwordx2 s[34:35], s[4:5], 0x20
	s_waitcnt lgkmcnt(0)
	s_mul_i32 s0, s46, s52
	s_mul_hi_u32 s1, s46, s53
	s_ashr_i32 s73, s8, 31
	s_ashr_i32 s74, s69, 31
	s_add_i32 s0, s1, s0
	s_mul_i32 s1, s47, s53
	s_mul_i32 s2, s44, s73
	s_mul_hi_u32 s3, s44, s8
	s_mul_i32 s6, s42, s74
	s_mul_hi_u32 s7, s42, s69
	s_add_i32 s1, s0, s1
	s_mul_i32 s0, s46, s53
	s_add_i32 s2, s3, s2
	s_mul_i32 s3, s45, s8
	;; [unrolled: 2-line block ×3, first 2 shown]
	s_add_i32 s3, s2, s3
	s_add_i32 s7, s6, s7
	s_lshl_b64 s[0:1], s[0:1], 1
	s_mul_i32 s2, s44, s8
	s_add_u32 s6, s24, s0
	s_load_dwordx4 s[44:47], s[4:5], 0xa8
	s_addc_u32 s13, s25, s1
	s_lshl_b64 s[0:1], s[2:3], 1
	s_add_u32 s2, s6, s0
	s_mul_i32 s6, s42, s69
	s_addc_u32 s3, s13, s1
	s_lshl_b64 s[0:1], s[6:7], 1
	s_add_u32 s13, s2, s0
	s_addc_u32 s33, s3, s1
	s_load_dwordx4 s[0:3], s[4:5], 0xf8
	s_waitcnt lgkmcnt(0)
	s_mul_i32 s6, s46, s52
	s_mul_hi_u32 s7, s46, s53
	s_add_i32 s6, s7, s6
	s_mul_i32 s7, s47, s53
	s_mul_i32 s24, s44, s73
	s_mul_hi_u32 s25, s44, s8
	s_add_i32 s7, s6, s7
	s_mul_i32 s6, s46, s53
	s_add_i32 s24, s25, s24
	s_mul_i32 s25, s45, s8
	s_add_i32 s25, s24, s25
	s_lshl_b64 s[6:7], s[6:7], 1
	s_mul_i32 s24, s44, s8
	s_add_u32 s34, s34, s6
	v_cmp_neq_f64_e64 s[44:45], s[28:29], 1.0
	v_cmp_neq_f64_e64 s[46:47], s[30:31], 0
	s_addc_u32 s35, s35, s7
	s_lshl_b64 s[6:7], s[24:25], 1
	s_load_dword s70, s[4:5], 0x108
	s_load_dword s75, s[4:5], 0x11c
	s_add_u32 s71, s34, s6
	s_addc_u32 s72, s35, s7
	s_load_dwordx16 s[52:67], s[4:5], 0x68
	s_cmp_gt_i32 s12, 0
	s_cselect_b64 s[6:7], -1, 0
	s_cmp_gt_i32 s2, 0
	s_cselect_b64 s[24:25], -1, 0
	;; [unrolled: 2-line block ×3, first 2 shown]
	s_waitcnt lgkmcnt(0)
	s_cmp_gt_i32 s70, 0
	s_cselect_b64 s[42:43], -1, 0
	s_or_b64 s[44:45], s[44:45], s[46:47]
	s_mul_i32 s46, s58, s73
	s_and_b32 s73, s75, 0xffff
	s_abs_i32 s75, s68
	v_cvt_f32_u32_e32 v5, s75
	s_ashr_i32 s79, s17, 31
	s_abs_i32 s17, s17
	s_abs_i32 s81, s18
	v_rcp_iflag_f32_e32 v5, v5
	s_abs_i32 s77, s10
	s_abs_i32 s78, s9
	v_cvt_f32_u32_e32 v1, s77
	v_mul_f32_e32 v5, 0x4f7ffffe, v5
	v_cvt_u32_f32_e32 v8, v5
	v_cvt_f32_u32_e32 v5, s17
	v_cvt_f32_u32_e32 v3, s78
	s_abs_i32 s83, s19
	v_rcp_iflag_f32_e32 v1, v1
	v_rcp_iflag_f32_e32 v5, v5
	;; [unrolled: 1-line block ×3, first 2 shown]
	s_mul_hi_u32 s47, s58, s8
	v_mul_f32_e32 v1, 0x4f7ffffe, v1
	v_mul_f32_e32 v5, 0x4f7ffffe, v5
	v_cvt_u32_f32_e32 v10, v5
	v_cvt_f32_u32_e32 v5, s81
	v_mul_f32_e32 v3, 0x4f7ffffe, v3
	v_cvt_u32_f32_e32 v1, v1
	v_cvt_u32_f32_e32 v3, v3
	v_rcp_iflag_f32_e32 v5, v5
	s_add_i32 s46, s47, s46
	s_mul_i32 s47, s59, s8
	s_add_i32 s47, s46, s47
	v_mul_f32_e32 v5, 0x4f7ffffe, v5
	v_cvt_u32_f32_e32 v12, v5
	v_cvt_f32_u32_e32 v5, s83
	s_mul_i32 s46, s58, s8
	s_sub_i32 s8, 0, s77
	s_sub_i32 s9, 0, s78
	v_rcp_iflag_f32_e32 v5, v5
	v_mul_lo_u32 v2, s8, v1
	v_mul_lo_u32 v4, s9, v3
	s_mul_i32 s4, s54, s74
	v_mul_f32_e32 v5, 0x4f7ffffe, v5
	v_cvt_u32_f32_e32 v14, v5
	s_mul_hi_u32 s5, s54, s69
	s_add_i32 s4, s5, s4
	s_mul_i32 s5, s55, s69
	s_add_i32 s5, s4, s5
	s_mul_i32 s4, s54, s69
	s_sub_i32 s54, 0, s75
	s_sub_i32 s55, 0, s17
	s_ashr_i32 s80, s18, 31
	s_sub_i32 s18, 0, s81
	s_ashr_i32 s82, s19, 31
	s_sub_i32 s19, 0, s83
	v_mul_lo_u32 v9, s54, v8
	v_mul_lo_u32 v11, s55, v10
	;; [unrolled: 1-line block ×4, first 2 shown]
	v_mul_hi_u32 v2, v1, v2
	v_mul_hi_u32 v4, v3, v4
	s_ashr_i32 s74, s68, 31
	s_lshl_b64 s[4:5], s[4:5], 1
	s_lshl_b64 s[46:47], s[46:47], 1
	s_ashr_i32 s76, s10, 31
	v_add_u32_e32 v5, v1, v2
	v_add_u32_e32 v7, v3, v4
	v_mul_hi_u32 v1, v8, v9
	v_mul_hi_u32 v2, v10, v11
	;; [unrolled: 1-line block ×4, first 2 shown]
	s_add_u32 s4, s4, s46
	s_addc_u32 s5, s5, s47
	s_add_u32 s4, s26, s4
	s_addc_u32 s5, s27, s5
	v_mov_b32_e32 v6, 0
	v_add_u32_e32 v8, v8, v1
	v_add_u32_e32 v9, v10, v2
	v_add_u32_e32 v10, v12, v3
	v_add_u32_e32 v11, v14, v4
	s_mov_b32 s84, 0x7f800000
	s_mov_b64 s[8:9], 0
	s_lshl_b64 s[18:19], s[56:57], 1
	s_lshl_b64 s[26:27], s[52:53], 1
	s_lshl_b64 s[46:47], s[50:51], 1
	s_lshl_b64 s[48:49], s[48:49], 1
	s_branch .LBB73_3
.LBB73_2:                               ;   in Loop: Header=BB73_3 Depth=1
	v_add_u32_e32 v0, s73, v0
	v_cmp_le_i32_e32 vcc, s11, v0
	s_or_b64 s[8:9], vcc, s[8:9]
	s_andn2_b64 exec, exec, s[8:9]
	s_cbranch_execz .LBB73_38
.LBB73_3:                               ; =>This Loop Header: Depth=1
                                        ;     Child Loop BB73_6 Depth 2
                                        ;       Child Loop BB73_9 Depth 3
                                        ;         Child Loop BB73_18 Depth 4
                                        ;           Child Loop BB73_25 Depth 5
	v_sub_u32_e32 v1, 0, v0
	v_max_i32_e32 v1, v0, v1
	v_mul_hi_u32 v2, v1, v5
	v_ashrrev_i32_e32 v12, 31, v0
	v_xor_b32_e32 v4, s76, v12
	v_mul_hi_u32 v15, v1, v8
	v_mul_lo_u32 v3, v2, s77
	v_add_u32_e32 v13, 1, v2
	v_sub_u32_e32 v3, v1, v3
	v_cmp_le_u32_e32 vcc, s77, v3
	v_cndmask_b32_e32 v2, v2, v13, vcc
	v_subrev_u32_e32 v13, s77, v3
	v_cndmask_b32_e32 v3, v3, v13, vcc
	v_add_u32_e32 v13, 1, v2
	v_cmp_le_u32_e32 vcc, s77, v3
	v_cndmask_b32_e32 v2, v2, v13, vcc
	v_xor_b32_e32 v2, v2, v4
	v_sub_u32_e32 v2, v2, v4
	v_sub_u32_e32 v3, 0, v2
	v_max_i32_e32 v4, v2, v3
	v_mul_hi_u32 v3, v4, v7
	v_mul_lo_u32 v13, v2, s10
	v_ashrrev_i32_e32 v2, 31, v2
	v_mul_lo_u32 v14, v3, s78
	v_sub_u32_e32 v3, v0, v13
	v_sub_u32_e32 v4, v4, v14
	v_subrev_u32_e32 v13, s78, v4
	v_cmp_le_u32_e32 vcc, s78, v4
	v_cndmask_b32_e32 v4, v4, v13, vcc
	v_subrev_u32_e32 v13, s78, v4
	v_cmp_le_u32_e32 vcc, s78, v4
	v_cndmask_b32_e32 v4, v4, v13, vcc
	v_mul_lo_u32 v13, v15, s75
	v_xor_b32_e32 v4, v4, v2
	v_sub_u32_e32 v4, v4, v2
	v_xor_b32_e32 v2, s74, v12
	v_sub_u32_e32 v1, v1, v13
	v_add_u32_e32 v12, 1, v15
	v_cmp_le_u32_e32 vcc, s75, v1
	v_subrev_u32_e32 v13, s75, v1
	v_cndmask_b32_e32 v12, v15, v12, vcc
	v_cndmask_b32_e32 v1, v1, v13, vcc
	v_add_u32_e32 v13, 1, v12
	v_cmp_le_u32_e32 vcc, s75, v1
	v_cndmask_b32_e32 v1, v12, v13, vcc
	v_xor_b32_e32 v1, v1, v2
	s_andn2_b64 vcc, exec, s[6:7]
	v_sub_u32_e32 v12, v1, v2
	s_cbranch_vccnz .LBB73_33
; %bb.4:                                ;   in Loop: Header=BB73_3 Depth=1
	v_mov_b32_e32 v1, 0
	v_add_u32_e32 v13, s23, v12
	v_add_u32_e32 v14, s0, v4
	;; [unrolled: 1-line block ×3, first 2 shown]
	v_mov_b32_e32 v2, 0
	s_mov_b32 s85, 0
	s_mov_b64 s[50:51], s[4:5]
	s_branch .LBB73_6
.LBB73_5:                               ;   in Loop: Header=BB73_6 Depth=2
	s_add_i32 s85, s85, 1
	s_add_u32 s50, s50, s18
	s_addc_u32 s51, s51, s19
	s_cmp_eq_u32 s85, s12
	s_cbranch_scc1 .LBB73_34
.LBB73_6:                               ;   Parent Loop BB73_3 Depth=1
                                        ; =>  This Loop Header: Depth=2
                                        ;       Child Loop BB73_9 Depth 3
                                        ;         Child Loop BB73_18 Depth 4
                                        ;           Child Loop BB73_25 Depth 5
	s_andn2_b64 vcc, exec, s[24:25]
	s_cbranch_vccnz .LBB73_5
; %bb.7:                                ;   in Loop: Header=BB73_6 Depth=2
	s_mul_i32 s52, s67, s85
	s_mul_hi_u32 s53, s66, s85
	s_add_i32 s53, s53, s52
	s_mul_i32 s52, s66, s85
	s_lshl_b64 s[52:53], s[52:53], 1
	s_add_u32 s86, s71, s52
	s_addc_u32 s87, s72, s53
	s_mov_b32 s88, 0
	s_mov_b64 s[52:53], s[50:51]
	s_branch .LBB73_9
.LBB73_8:                               ;   in Loop: Header=BB73_9 Depth=3
	s_add_i32 s88, s88, 1
	s_add_u32 s52, s52, s26
	s_addc_u32 s53, s53, s27
	s_cmp_eq_u32 s88, s2
	s_cbranch_scc1 .LBB73_5
.LBB73_9:                               ;   Parent Loop BB73_3 Depth=1
                                        ;     Parent Loop BB73_6 Depth=2
                                        ; =>    This Loop Header: Depth=3
                                        ;         Child Loop BB73_18 Depth 4
                                        ;           Child Loop BB73_25 Depth 5
	s_mul_i32 s54, s20, s88
	v_subrev_u32_e32 v21, s54, v13
	v_sub_u32_e32 v16, 0, v21
	v_cmp_lt_i32_e32 vcc, -1, v21
	s_mov_b64 s[54:55], 0
	v_ashrrev_i32_e32 v17, 31, v21
	v_max_i32_e32 v20, v21, v16
                                        ; implicit-def: $vgpr16
                                        ; implicit-def: $vgpr18
                                        ; implicit-def: $vgpr19
	s_and_saveexec_b64 s[56:57], vcc
	s_xor_b64 s[56:57], exec, s[56:57]
	s_cbranch_execnz .LBB73_13
; %bb.10:                               ;   in Loop: Header=BB73_9 Depth=3
	s_andn2_saveexec_b64 s[56:57], s[56:57]
	s_cbranch_execnz .LBB73_14
.LBB73_11:                              ;   in Loop: Header=BB73_9 Depth=3
	s_or_b64 exec, exec, s[56:57]
	v_mov_b32_e32 v20, 1
	s_and_saveexec_b64 s[56:57], s[54:55]
	s_cbranch_execnz .LBB73_15
.LBB73_12:                              ;   in Loop: Header=BB73_9 Depth=3
	s_or_b64 exec, exec, s[56:57]
	s_andn2_b64 vcc, exec, s[34:35]
	s_cbranch_vccz .LBB73_16
	s_branch .LBB73_8
.LBB73_13:                              ;   in Loop: Header=BB73_9 Depth=3
	v_mul_hi_u32 v16, v20, v9
	v_ashrrev_i32_e32 v17, 31, v21
	v_mul_lo_u32 v18, v16, s17
	v_sub_u32_e32 v18, v20, v18
	v_subrev_u32_e32 v19, s17, v18
	v_cmp_le_u32_e32 vcc, s17, v18
	v_cndmask_b32_e32 v20, v18, v19, vcc
	v_subrev_u32_e32 v21, s17, v20
	v_cmp_le_u32_e32 vcc, s17, v20
	v_cndmask_b32_e32 v20, v20, v21, vcc
	v_xor_b32_e32 v20, v20, v17
	v_sub_u32_e32 v20, v20, v17
	v_cmp_ne_u32_e32 vcc, 0, v20
	s_and_b64 s[54:55], vcc, exec
                                        ; implicit-def: $vgpr20
	s_andn2_saveexec_b64 s[56:57], s[56:57]
	s_cbranch_execz .LBB73_11
.LBB73_14:                              ;   in Loop: Header=BB73_9 Depth=3
	v_mul_hi_u32 v16, v20, v9
	s_or_b64 s[54:55], s[54:55], exec
	v_mul_lo_u32 v18, v16, s17
	v_sub_u32_e32 v18, v20, v18
	v_subrev_u32_e32 v19, s17, v18
	s_or_b64 exec, exec, s[56:57]
	v_mov_b32_e32 v20, 1
	s_and_saveexec_b64 s[56:57], s[54:55]
	s_cbranch_execz .LBB73_12
.LBB73_15:                              ;   in Loop: Header=BB73_9 Depth=3
	v_mov_b32_e32 v20, 0
	s_or_b64 exec, exec, s[56:57]
	s_andn2_b64 vcc, exec, s[34:35]
	s_cbranch_vccnz .LBB73_8
.LBB73_16:                              ;   in Loop: Header=BB73_9 Depth=3
	v_add_u32_e32 v21, 1, v16
	v_cmp_le_u32_e32 vcc, s17, v18
	v_cndmask_b32_e32 v16, v16, v21, vcc
	v_cndmask_b32_e32 v18, v18, v19, vcc
	v_add_u32_e32 v19, 1, v16
	v_cmp_le_u32_e32 vcc, s17, v18
	v_xor_b32_e32 v17, s79, v17
	v_cndmask_b32_e32 v16, v16, v19, vcc
	v_xor_b32_e32 v16, v16, v17
	v_sub_u32_e32 v16, v16, v17
	v_ashrrev_i32_e32 v17, 31, v16
	v_mul_lo_u32 v19, s64, v17
	v_mul_lo_u32 v21, s65, v16
	v_mad_u64_u32 v[17:18], s[54:55], s64, v16, 0
	v_cmp_gt_i32_e32 vcc, s14, v16
	v_cndmask_b32_e32 v16, 0, v20, vcc
	v_add3_u32 v18, v18, v19, v21
	v_lshlrev_b64 v[17:18], 1, v[17:18]
	v_mov_b32_e32 v19, s87
	v_add_co_u32_e32 v17, vcc, s86, v17
	s_mov_b32 s89, 0
	v_addc_co_u32_e32 v18, vcc, v19, v18, vcc
	s_mov_b64 s[54:55], s[52:53]
	s_branch .LBB73_18
.LBB73_17:                              ;   in Loop: Header=BB73_18 Depth=4
	s_add_i32 s89, s89, 1
	s_add_u32 s54, s54, s46
	s_addc_u32 s55, s55, s47
	s_cmp_eq_u32 s89, s3
	s_cbranch_scc1 .LBB73_8
.LBB73_18:                              ;   Parent Loop BB73_3 Depth=1
                                        ;     Parent Loop BB73_6 Depth=2
                                        ;       Parent Loop BB73_9 Depth=3
                                        ; =>      This Loop Header: Depth=4
                                        ;           Child Loop BB73_25 Depth 5
	s_mul_i32 s56, s21, s89
	v_subrev_u32_e32 v19, s56, v14
	v_sub_u32_e32 v21, 0, v19
	v_cmp_gt_i32_e64 s[56:57], 0, v19
	v_cmp_lt_i32_e32 vcc, -1, v19
	v_ashrrev_i32_e32 v20, 31, v19
	v_max_i32_e32 v19, v19, v21
	s_and_saveexec_b64 s[58:59], vcc
	s_cbranch_execnz .LBB73_21
; %bb.19:                               ;   in Loop: Header=BB73_18 Depth=4
	s_or_b64 exec, exec, s[58:59]
	v_mov_b32_e32 v21, 1
	s_and_saveexec_b64 s[58:59], s[56:57]
	s_cbranch_execnz .LBB73_22
.LBB73_20:                              ;   in Loop: Header=BB73_18 Depth=4
	s_or_b64 exec, exec, s[58:59]
	s_andn2_b64 vcc, exec, s[42:43]
	s_cbranch_vccz .LBB73_23
	s_branch .LBB73_17
.LBB73_21:                              ;   in Loop: Header=BB73_18 Depth=4
	v_mul_hi_u32 v21, v19, v10
	s_andn2_b64 s[56:57], s[56:57], exec
	v_mul_lo_u32 v21, v21, s81
	v_sub_u32_e32 v21, v19, v21
	v_subrev_u32_e32 v22, s81, v21
	v_cmp_le_u32_e32 vcc, s81, v21
	v_cndmask_b32_e32 v21, v21, v22, vcc
	v_subrev_u32_e32 v22, s81, v21
	v_cmp_le_u32_e32 vcc, s81, v21
	v_cndmask_b32_e32 v21, v21, v22, vcc
	v_xor_b32_e32 v21, v21, v20
	v_sub_u32_e32 v21, v21, v20
	v_cmp_ne_u32_e32 vcc, 0, v21
	s_and_b64 s[68:69], vcc, exec
	s_or_b64 s[56:57], s[56:57], s[68:69]
	s_or_b64 exec, exec, s[58:59]
	v_mov_b32_e32 v21, 1
	s_and_saveexec_b64 s[58:59], s[56:57]
	s_cbranch_execz .LBB73_20
.LBB73_22:                              ;   in Loop: Header=BB73_18 Depth=4
	v_mov_b32_e32 v21, 0
	s_or_b64 exec, exec, s[58:59]
	s_andn2_b64 vcc, exec, s[42:43]
	s_cbranch_vccnz .LBB73_17
.LBB73_23:                              ;   in Loop: Header=BB73_18 Depth=4
	v_mul_hi_u32 v22, v19, v10
	v_xor_b32_e32 v20, s80, v20
	s_mov_b32 s90, s70
	v_mul_lo_u32 v23, v22, s81
	v_add_u32_e32 v24, 1, v22
	v_sub_u32_e32 v19, v19, v23
	v_cmp_le_u32_e32 vcc, s81, v19
	v_subrev_u32_e32 v23, s81, v19
	v_cndmask_b32_e32 v22, v22, v24, vcc
	v_cndmask_b32_e32 v19, v19, v23, vcc
	v_add_u32_e32 v23, 1, v22
	v_cmp_le_u32_e32 vcc, s81, v19
	v_cndmask_b32_e32 v19, v22, v23, vcc
	v_xor_b32_e32 v19, v19, v20
	v_sub_u32_e32 v19, v19, v20
	v_ashrrev_i32_e32 v20, 31, v19
	v_mul_lo_u32 v20, s62, v20
	v_mul_lo_u32 v24, s63, v19
	v_mad_u64_u32 v[22:23], s[56:57], s62, v19, 0
	v_cmp_gt_i32_e32 vcc, s15, v19
	v_cndmask_b32_e32 v19, 0, v21, vcc
	v_add3_u32 v23, v23, v20, v24
	v_lshlrev_b64 v[20:21], 1, v[22:23]
	v_and_b32_e32 v19, v19, v16
	v_add_co_u32_e32 v20, vcc, v17, v20
	v_addc_co_u32_e32 v21, vcc, v18, v21, vcc
	s_mov_b64 s[56:57], s[54:55]
	v_mov_b32_e32 v22, v15
	s_branch .LBB73_25
.LBB73_24:                              ;   in Loop: Header=BB73_25 Depth=5
	s_or_b64 exec, exec, s[58:59]
	s_add_i32 s90, s90, -1
	s_add_u32 s56, s56, s48
	s_addc_u32 s57, s57, s49
	s_cmp_eq_u32 s90, 0
	v_subrev_u32_e32 v22, s22, v22
	s_cbranch_scc1 .LBB73_17
.LBB73_25:                              ;   Parent Loop BB73_3 Depth=1
                                        ;     Parent Loop BB73_6 Depth=2
                                        ;       Parent Loop BB73_9 Depth=3
                                        ;         Parent Loop BB73_18 Depth=4
                                        ; =>        This Inner Loop Header: Depth=5
	v_sub_u32_e32 v23, 0, v22
	v_cmp_lt_i32_e32 vcc, -1, v22
	s_mov_b64 s[58:59], 0
	v_ashrrev_i32_e32 v24, 31, v22
	v_max_i32_e32 v27, v22, v23
                                        ; implicit-def: $vgpr23
                                        ; implicit-def: $vgpr25
                                        ; implicit-def: $vgpr26
	s_and_saveexec_b64 s[68:69], vcc
	s_xor_b64 s[68:69], exec, s[68:69]
	s_cbranch_execnz .LBB73_31
; %bb.26:                               ;   in Loop: Header=BB73_25 Depth=5
	s_andn2_saveexec_b64 s[68:69], s[68:69]
	s_cbranch_execnz .LBB73_32
.LBB73_27:                              ;   in Loop: Header=BB73_25 Depth=5
	s_or_b64 exec, exec, s[68:69]
	v_mov_b32_e32 v27, 1
	s_and_saveexec_b64 s[68:69], s[58:59]
.LBB73_28:                              ;   in Loop: Header=BB73_25 Depth=5
	v_mov_b32_e32 v27, 0
.LBB73_29:                              ;   in Loop: Header=BB73_25 Depth=5
	s_or_b64 exec, exec, s[68:69]
	v_add_u32_e32 v28, 1, v23
	v_cmp_le_u32_e32 vcc, s83, v25
	v_cndmask_b32_e32 v23, v23, v28, vcc
	v_cndmask_b32_e32 v25, v25, v26, vcc
	v_add_u32_e32 v26, 1, v23
	v_cmp_le_u32_e32 vcc, s83, v25
	v_xor_b32_e32 v24, s82, v24
	v_cndmask_b32_e32 v23, v23, v26, vcc
	v_xor_b32_e32 v23, v23, v24
	v_sub_u32_e32 v23, v23, v24
	v_cmp_gt_i32_e32 vcc, s16, v23
	v_cndmask_b32_e32 v24, 0, v27, vcc
	v_and_b32_e32 v24, v19, v24
	v_and_b32_e32 v24, 1, v24
	v_cmp_eq_u32_e32 vcc, 1, v24
	s_and_saveexec_b64 s[58:59], vcc
	s_cbranch_execz .LBB73_24
; %bb.30:                               ;   in Loop: Header=BB73_25 Depth=5
	v_ashrrev_i32_e32 v25, 31, v23
	v_mul_lo_u32 v26, s61, v23
	v_mad_u64_u32 v[23:24], s[68:69], s60, v23, 0
	v_mul_lo_u32 v25, s60, v25
	v_add3_u32 v24, v24, v25, v26
	v_lshlrev_b64 v[23:24], 1, v[23:24]
	v_add_co_u32_e32 v23, vcc, v20, v23
	v_addc_co_u32_e32 v24, vcc, v21, v24, vcc
	global_load_ushort v25, v6, s[56:57]
	s_nop 0
	global_load_ushort v23, v[23:24], off
	s_waitcnt vmcnt(1)
	v_lshlrev_b32_e32 v25, 16, v25
	s_waitcnt vmcnt(0)
	v_lshlrev_b32_e32 v23, 16, v23
	v_cvt_f64_f32_e32 v[23:24], v23
	v_cvt_f64_f32_e32 v[25:26], v25
	v_fma_f64 v[1:2], v[23:24], v[25:26], v[1:2]
	s_branch .LBB73_24
.LBB73_31:                              ;   in Loop: Header=BB73_25 Depth=5
	v_mul_hi_u32 v23, v27, v11
	v_ashrrev_i32_e32 v24, 31, v22
	v_mul_lo_u32 v25, v23, s83
	v_sub_u32_e32 v25, v27, v25
	v_subrev_u32_e32 v26, s83, v25
	v_cmp_le_u32_e32 vcc, s83, v25
	v_cndmask_b32_e32 v27, v25, v26, vcc
	v_subrev_u32_e32 v28, s83, v27
	v_cmp_le_u32_e32 vcc, s83, v27
	v_cndmask_b32_e32 v27, v27, v28, vcc
	v_xor_b32_e32 v27, v27, v24
	v_sub_u32_e32 v27, v27, v24
	v_cmp_ne_u32_e32 vcc, 0, v27
	s_and_b64 s[58:59], vcc, exec
                                        ; implicit-def: $vgpr27
	s_andn2_saveexec_b64 s[68:69], s[68:69]
	s_cbranch_execz .LBB73_27
.LBB73_32:                              ;   in Loop: Header=BB73_25 Depth=5
	v_mul_hi_u32 v23, v27, v11
	s_or_b64 s[58:59], s[58:59], exec
	v_mul_lo_u32 v25, v23, s83
	v_sub_u32_e32 v25, v27, v25
	v_subrev_u32_e32 v26, s83, v25
	s_or_b64 exec, exec, s[68:69]
	v_mov_b32_e32 v27, 1
	s_and_saveexec_b64 s[68:69], s[58:59]
	s_cbranch_execnz .LBB73_28
	s_branch .LBB73_29
.LBB73_33:                              ;   in Loop: Header=BB73_3 Depth=1
	v_mov_b32_e32 v1, 0
	v_mov_b32_e32 v2, 0
.LBB73_34:                              ;   in Loop: Header=BB73_3 Depth=1
	v_ashrrev_i32_e32 v13, 31, v3
	v_mul_lo_u32 v15, s37, v3
	v_mul_lo_u32 v16, s36, v13
	v_mad_u64_u32 v[13:14], s[50:51], s36, v3, 0
	v_ashrrev_i32_e32 v3, 31, v4
	v_mul_lo_u32 v3, s38, v3
	v_add3_u32 v14, v14, v16, v15
	v_mad_u64_u32 v[13:14], s[50:51], s38, v4, v[13:14]
	v_mul_lo_u32 v4, s39, v4
	v_ashrrev_i32_e32 v15, 31, v12
	s_and_b64 vcc, exec, s[44:45]
	v_add3_u32 v14, v4, v14, v3
	v_mad_u64_u32 v[3:4], s[50:51], s40, v12, v[13:14]
	v_mul_lo_u32 v12, s41, v12
	v_mul_lo_u32 v13, s40, v15
	s_mov_b64 s[50:51], -1
	v_add3_u32 v4, v12, v4, v13
	v_lshlrev_b64 v[3:4], 1, v[3:4]
	s_cbranch_vccz .LBB73_36
; %bb.35:                               ;   in Loop: Header=BB73_3 Depth=1
	v_mov_b32_e32 v13, s33
	v_add_co_u32_e32 v12, vcc, s13, v3
	v_addc_co_u32_e32 v13, vcc, v13, v4, vcc
	global_load_ushort v14, v[12:13], off
	s_waitcnt vmcnt(0)
	v_lshlrev_b32_e32 v14, 16, v14
	v_cvt_f64_f32_e32 v[14:15], v14
	v_mul_f64 v[14:15], s[30:31], v[14:15]
	v_fma_f64 v[14:15], s[28:29], v[1:2], v[14:15]
	v_cvt_f32_f64_e32 v14, v[14:15]
	v_and_b32_e32 v15, 0x7f800000, v14
	v_cmp_ne_u32_sdwa s[50:51], v14, v6 src0_sel:WORD_0 src1_sel:DWORD
	v_cmp_eq_u32_e32 vcc, s84, v15
	s_and_b64 s[50:51], vcc, s[50:51]
	v_cndmask_b32_e64 v15, 0, 1, s[50:51]
	v_or_b32_sdwa v14, v14, v15 dst_sel:DWORD dst_unused:UNUSED_PAD src0_sel:WORD_1 src1_sel:DWORD
	global_store_short v[12:13], v14, off
	s_mov_b64 s[50:51], 0
.LBB73_36:                              ;   in Loop: Header=BB73_3 Depth=1
	s_andn2_b64 vcc, exec, s[50:51]
	s_cbranch_vccnz .LBB73_2
; %bb.37:                               ;   in Loop: Header=BB73_3 Depth=1
	v_cvt_f32_f64_e32 v1, v[1:2]
	v_mov_b32_e32 v2, s33
	v_and_b32_e32 v12, 0x7f800000, v1
	v_cmp_ne_u32_sdwa s[50:51], v1, v6 src0_sel:WORD_0 src1_sel:DWORD
	v_cmp_eq_u32_e32 vcc, s84, v12
	s_and_b64 s[50:51], vcc, s[50:51]
	v_cndmask_b32_e64 v12, 0, 1, s[50:51]
	v_or_b32_sdwa v12, v1, v12 dst_sel:DWORD dst_unused:UNUSED_PAD src0_sel:WORD_1 src1_sel:DWORD
	v_add_co_u32_e32 v1, vcc, s13, v3
	v_addc_co_u32_e32 v2, vcc, v2, v4, vcc
	global_store_short v[1:2], v12, off
	s_branch .LBB73_2
.LBB73_38:
	s_endpgm
	.section	.rodata,"a",@progbits
	.p2align	6, 0x0
	.amdhsa_kernel naive_conv_ab_nonpacked_bwd_ncdhw_ushort_double_ushort
		.amdhsa_group_segment_fixed_size 0
		.amdhsa_private_segment_fixed_size 0
		.amdhsa_kernarg_size 528
		.amdhsa_user_sgpr_count 6
		.amdhsa_user_sgpr_private_segment_buffer 1
		.amdhsa_user_sgpr_dispatch_ptr 0
		.amdhsa_user_sgpr_queue_ptr 0
		.amdhsa_user_sgpr_kernarg_segment_ptr 1
		.amdhsa_user_sgpr_dispatch_id 0
		.amdhsa_user_sgpr_flat_scratch_init 0
		.amdhsa_user_sgpr_private_segment_size 0
		.amdhsa_uses_dynamic_stack 0
		.amdhsa_system_sgpr_private_segment_wavefront_offset 0
		.amdhsa_system_sgpr_workgroup_id_x 1
		.amdhsa_system_sgpr_workgroup_id_y 0
		.amdhsa_system_sgpr_workgroup_id_z 0
		.amdhsa_system_sgpr_workgroup_info 0
		.amdhsa_system_vgpr_workitem_id 0
		.amdhsa_next_free_vgpr 29
		.amdhsa_next_free_sgpr 91
		.amdhsa_reserve_vcc 1
		.amdhsa_reserve_flat_scratch 0
		.amdhsa_float_round_mode_32 0
		.amdhsa_float_round_mode_16_64 0
		.amdhsa_float_denorm_mode_32 3
		.amdhsa_float_denorm_mode_16_64 3
		.amdhsa_dx10_clamp 1
		.amdhsa_ieee_mode 1
		.amdhsa_fp16_overflow 0
		.amdhsa_exception_fp_ieee_invalid_op 0
		.amdhsa_exception_fp_denorm_src 0
		.amdhsa_exception_fp_ieee_div_zero 0
		.amdhsa_exception_fp_ieee_overflow 0
		.amdhsa_exception_fp_ieee_underflow 0
		.amdhsa_exception_fp_ieee_inexact 0
		.amdhsa_exception_int_div_zero 0
	.end_amdhsa_kernel
	.text
.Lfunc_end73:
	.size	naive_conv_ab_nonpacked_bwd_ncdhw_ushort_double_ushort, .Lfunc_end73-naive_conv_ab_nonpacked_bwd_ncdhw_ushort_double_ushort
                                        ; -- End function
	.set naive_conv_ab_nonpacked_bwd_ncdhw_ushort_double_ushort.num_vgpr, 29
	.set naive_conv_ab_nonpacked_bwd_ncdhw_ushort_double_ushort.num_agpr, 0
	.set naive_conv_ab_nonpacked_bwd_ncdhw_ushort_double_ushort.numbered_sgpr, 91
	.set naive_conv_ab_nonpacked_bwd_ncdhw_ushort_double_ushort.num_named_barrier, 0
	.set naive_conv_ab_nonpacked_bwd_ncdhw_ushort_double_ushort.private_seg_size, 0
	.set naive_conv_ab_nonpacked_bwd_ncdhw_ushort_double_ushort.uses_vcc, 1
	.set naive_conv_ab_nonpacked_bwd_ncdhw_ushort_double_ushort.uses_flat_scratch, 0
	.set naive_conv_ab_nonpacked_bwd_ncdhw_ushort_double_ushort.has_dyn_sized_stack, 0
	.set naive_conv_ab_nonpacked_bwd_ncdhw_ushort_double_ushort.has_recursion, 0
	.set naive_conv_ab_nonpacked_bwd_ncdhw_ushort_double_ushort.has_indirect_call, 0
	.section	.AMDGPU.csdata,"",@progbits
; Kernel info:
; codeLenInByte = 2832
; TotalNumSgprs: 95
; NumVgprs: 29
; ScratchSize: 0
; MemoryBound: 0
; FloatMode: 240
; IeeeMode: 1
; LDSByteSize: 0 bytes/workgroup (compile time only)
; SGPRBlocks: 11
; VGPRBlocks: 7
; NumSGPRsForWavesPerEU: 95
; NumVGPRsForWavesPerEU: 29
; Occupancy: 8
; WaveLimiterHint : 1
; COMPUTE_PGM_RSRC2:SCRATCH_EN: 0
; COMPUTE_PGM_RSRC2:USER_SGPR: 6
; COMPUTE_PGM_RSRC2:TRAP_HANDLER: 0
; COMPUTE_PGM_RSRC2:TGID_X_EN: 1
; COMPUTE_PGM_RSRC2:TGID_Y_EN: 0
; COMPUTE_PGM_RSRC2:TGID_Z_EN: 0
; COMPUTE_PGM_RSRC2:TIDIG_COMP_CNT: 0
	.text
	.protected	naive_conv_ab_packed_bwd_ndhwc_float_double_float ; -- Begin function naive_conv_ab_packed_bwd_ndhwc_float_double_float
	.globl	naive_conv_ab_packed_bwd_ndhwc_float_double_float
	.p2align	8
	.type	naive_conv_ab_packed_bwd_ndhwc_float_double_float,@function
naive_conv_ab_packed_bwd_ndhwc_float_double_float: ; @naive_conv_ab_packed_bwd_ndhwc_float_double_float
; %bb.0:
	s_load_dwordx16 s[8:23], s[4:5], 0xb8
	s_abs_i32 s1, s6
	s_waitcnt lgkmcnt(0)
	s_abs_i32 s0, s8
	v_cvt_f32_u32_e32 v1, s0
	s_sub_i32 s2, 0, s0
	s_mul_i32 s7, s11, s8
	v_rcp_iflag_f32_e32 v1, v1
	v_mul_f32_e32 v1, 0x4f7ffffe, v1
	v_cvt_u32_f32_e32 v1, v1
	v_readfirstlane_b32 s3, v1
	s_mul_i32 s2, s2, s3
	s_mul_hi_u32 s2, s3, s2
	s_add_i32 s3, s3, s2
	s_mul_hi_u32 s2, s1, s3
	s_mul_i32 s3, s2, s0
	s_sub_i32 s3, s1, s3
	s_add_i32 s24, s2, 1
	s_sub_i32 s25, s3, s0
	s_cmp_ge_u32 s3, s0
	s_cselect_b32 s2, s24, s2
	s_cselect_b32 s3, s25, s3
	s_add_i32 s24, s2, 1
	s_cmp_ge_u32 s3, s0
	s_cselect_b32 s34, s24, s2
	s_abs_i32 s3, s11
	s_abs_i32 s2, s7
	v_cvt_f32_u32_e32 v1, s3
	v_cvt_f32_u32_e32 v2, s2
	s_mul_i32 s0, s13, s10
	s_mul_i32 s11, s0, s9
	v_rcp_iflag_f32_e32 v1, v1
	v_rcp_iflag_f32_e32 v2, v2
	v_cmp_gt_i32_e32 vcc, s11, v0
	v_mul_f32_e32 v1, 0x4f7ffffe, v1
	v_mul_f32_e32 v2, 0x4f7ffffe, v2
	v_cvt_u32_f32_e32 v1, v1
	v_cvt_u32_f32_e32 v2, v2
	v_readfirstlane_b32 s35, v1
	v_readfirstlane_b32 s33, v2
	s_and_saveexec_b64 s[24:25], vcc
	s_cbranch_execz .LBB74_35
; %bb.1:
	s_ashr_i32 s40, s6, 31
	s_ashr_i32 s36, s8, 31
	s_xor_b32 s36, s40, s36
	s_xor_b32 s34, s34, s36
	s_sub_i32 s41, s34, s36
	s_sub_i32 s34, 0, s3
	s_mul_i32 s34, s34, s35
	s_mul_hi_u32 s34, s35, s34
	s_abs_i32 s43, s41
	s_add_i32 s35, s35, s34
	s_mul_hi_u32 s44, s43, s35
	s_sub_i32 s34, 0, s2
	s_ashr_i32 s42, s41, 31
	s_mul_i32 s34, s34, s33
	s_mul_i32 s41, s41, s8
	;; [unrolled: 1-line block ×3, first 2 shown]
	s_mul_hi_u32 s36, s33, s34
	s_sub_i32 s6, s6, s41
	s_sub_i32 s41, s43, s44
	s_ashr_i32 s7, s7, 31
	s_add_i32 s33, s33, s36
	s_sub_i32 s43, s41, s3
	s_cmp_ge_u32 s41, s3
	s_cselect_b32 s41, s43, s41
	s_sub_i32 s43, s41, s3
	s_cmp_ge_u32 s41, s3
	s_cselect_b32 s3, s43, s41
	s_mul_hi_u32 s45, s1, s33
	s_xor_b32 s3, s3, s42
	s_sub_i32 s47, s3, s42
	s_xor_b32 s3, s40, s7
	s_mul_i32 s7, s45, s2
	s_sub_i32 s1, s1, s7
	s_add_i32 s7, s45, 1
	s_sub_i32 s40, s1, s2
	s_load_dwordx2 s[34:35], s[4:5], 0x108
	s_cmp_ge_u32 s1, s2
	s_cselect_b32 s7, s7, s45
	s_cselect_b32 s1, s40, s1
	s_add_i32 s40, s7, 1
	s_cmp_ge_u32 s1, s2
	s_cselect_b32 s1, s40, s7
	s_waitcnt lgkmcnt(0)
	s_mul_i32 s33, s35, s12
	s_mul_i32 s35, s35, s13
	s_xor_b32 s1, s1, s3
	s_sub_i32 s1, s1, s3
	s_ashr_i32 s48, s47, 31
	s_mul_i32 s3, s47, s8
	s_ashr_i32 s56, s35, 31
	s_ashr_i32 s7, s6, 31
	s_mul_hi_i32 s2, s47, s8
	s_add_u32 s8, s3, s6
	s_addc_u32 s2, s2, s7
	s_mul_i32 s7, s10, s9
	s_mul_hi_i32 s3, s10, s9
	s_mul_hi_u32 s9, s7, s35
	s_mul_i32 s40, s7, s56
	s_load_dwordx8 s[24:31], s[4:5], 0x0
	s_add_i32 s9, s9, s40
	s_mul_i32 s3, s3, s35
	s_mul_i32 s7, s7, s35
	s_add_i32 s3, s9, s3
	s_mul_i32 s2, s7, s2
	s_mul_hi_u32 s9, s7, s8
	s_add_i32 s2, s9, s2
	s_mul_i32 s3, s3, s8
	s_add_i32 s3, s2, s3
	s_mul_i32 s2, s7, s8
	s_load_dwordx4 s[36:39], s[4:5], 0xf8
	s_load_dword s46, s[4:5], 0x11c
	s_ashr_i32 s7, s13, 31
	s_lshl_b64 s[2:3], s[2:3], 2
	s_mul_hi_i32 s9, s1, s13
	s_mul_i32 s8, s1, s13
	s_waitcnt lgkmcnt(0)
	s_add_u32 s24, s24, s2
	s_addc_u32 s25, s25, s3
	s_lshl_b64 s[2:3], s[8:9], 2
	s_add_u32 s57, s24, s2
	s_addc_u32 s58, s25, s3
	s_ashr_i32 s49, s38, 31
	s_ashr_i32 s50, s14, 31
	;; [unrolled: 1-line block ×4, first 2 shown]
	s_cmp_lt_i32 s38, 1
	s_cselect_b64 s[8:9], -1, 0
	s_add_i32 s23, s6, s23
	s_cmp_gt_i32 s39, 0
	s_cselect_b64 s[24:25], -1, 0
	s_cmp_gt_i32 s34, 0
	s_cselect_b64 s[40:41], -1, 0
	s_cmp_gt_i32 s12, 0
	s_cselect_b64 s[42:43], -1, 0
	s_abs_i32 s61, s17
	v_cvt_f32_u32_e32 v1, s61
	s_load_dwordx2 s[2:3], s[4:5], 0x20
	v_cmp_neq_f64_e64 s[4:5], s[28:29], 1.0
	v_cmp_neq_f64_e64 s[44:45], s[30:31], 0
	v_rcp_iflag_f32_e32 v1, v1
	s_abs_i32 s66, s13
	s_abs_i32 s65, s0
	;; [unrolled: 1-line block ×3, first 2 shown]
	v_mul_f32_e32 v1, 0x4f7ffffe, v1
	v_cvt_u32_f32_e32 v1, v1
	s_abs_i32 s70, s18
	s_or_b64 s[44:45], s[4:5], s[44:45]
	s_sub_i32 s4, 0, s61
	v_readfirstlane_b32 s5, v1
	v_cvt_f32_u32_e32 v1, s66
	s_mul_i32 s4, s4, s5
	s_mul_hi_u32 s4, s5, s4
	s_abs_i32 s72, s19
	s_add_i32 s62, s5, s4
	s_mul_hi_i32 s5, s12, s1
	s_mul_i32 s4, s12, s1
	v_rcp_iflag_f32_e32 v1, v1
	v_cvt_f32_u32_e32 v2, s67
	v_cvt_f32_u32_e32 v3, s65
	;; [unrolled: 1-line block ×4, first 2 shown]
	s_and_b32 s63, s46, 0xffff
	s_ashr_i32 s64, s0, 31
	s_sub_i32 s6, 0, s66
	s_sub_i32 s46, 0, s67
	;; [unrolled: 1-line block ×3, first 2 shown]
	s_ashr_i32 s68, s17, 31
	s_ashr_i32 s69, s18, 31
	s_sub_i32 s17, 0, s70
	s_ashr_i32 s71, s19, 31
	s_sub_i32 s53, 0, s72
	s_lshl_b64 s[0:1], s[4:5], 2
	s_waitcnt lgkmcnt(0)
	s_add_u32 s18, s2, s0
	s_mul_i32 s0, s16, s15
	s_addc_u32 s19, s3, s1
	s_mul_i32 s1, s0, s50
	s_mul_hi_u32 s2, s0, s14
	s_add_i32 s1, s2, s1
	s_mul_hi_i32 s2, s16, s15
	v_mul_f32_e32 v1, 0x4f7ffffe, v1
	v_rcp_iflag_f32_e32 v2, v2
	v_rcp_iflag_f32_e32 v3, v3
	v_rcp_iflag_f32_e32 v5, v5
	v_rcp_iflag_f32_e32 v6, v6
	s_mul_i32 s2, s2, s14
	s_mul_i32 s0, s0, s14
	v_cvt_u32_f32_e32 v1, v1
	s_add_i32 s1, s1, s2
	s_mul_i32 s2, s0, s48
	s_mul_hi_u32 s3, s0, s47
	s_add_i32 s2, s3, s2
	s_mul_i32 s1, s1, s47
	s_add_i32 s1, s2, s1
	s_mul_i32 s2, s34, s39
	v_mul_f32_e32 v2, 0x4f7ffffe, v2
	v_mul_f32_e32 v3, 0x4f7ffffe, v3
	;; [unrolled: 1-line block ×4, first 2 shown]
	s_mul_i32 s0, s0, s47
	s_mul_i32 s3, s2, s7
	s_mul_hi_u32 s47, s2, s13
	v_mul_lo_u32 v4, s6, v1
	v_cvt_u32_f32_e32 v2, v2
	v_cvt_u32_f32_e32 v3, v3
	;; [unrolled: 1-line block ×4, first 2 shown]
	s_add_i32 s3, s47, s3
	s_mul_hi_i32 s47, s34, s39
	s_mul_i32 s47, s47, s13
	s_mul_i32 s2, s2, s13
	s_add_i32 s3, s3, s47
	s_mul_i32 s47, s2, s49
	s_mul_hi_u32 s48, s2, s38
	s_add_i32 s47, s48, s47
	s_mul_i32 s48, s3, s38
	v_mul_lo_u32 v7, s46, v2
	v_mul_lo_u32 v8, s52, v3
	;; [unrolled: 1-line block ×4, first 2 shown]
	v_mul_hi_u32 v4, v1, v4
	s_add_i32 s51, s47, s48
	s_mul_i32 s50, s2, s38
	s_mul_i32 s47, s4, s51
	s_mul_hi_u32 s48, s4, s50
	s_add_i32 s47, s48, s47
	s_mul_i32 s5, s5, s50
	s_add_i32 s5, s47, s5
	s_mul_i32 s4, s4, s50
	v_add_u32_e32 v18, v1, v4
	v_mul_hi_u32 v1, v2, v7
	v_mul_hi_u32 v4, v3, v8
	;; [unrolled: 1-line block ×4, first 2 shown]
	s_lshl_b64 s[46:47], s[0:1], 2
	s_lshl_b64 s[0:1], s[4:5], 2
	s_add_u32 s73, s26, s0
	s_addc_u32 s74, s27, s1
	s_mov_b32 s6, s13
	s_mul_hi_i32 s1, s34, s13
	s_mul_i32 s0, s34, s13
	v_add_u32_e32 v19, v2, v1
	v_add_u32_e32 v20, v3, v4
	;; [unrolled: 1-line block ×4, first 2 shown]
	s_lshl_b64 s[26:27], s[2:3], 2
	s_lshl_b64 s[48:49], s[0:1], 2
	;; [unrolled: 1-line block ×3, first 2 shown]
	s_mov_b32 s13, s39
	s_mov_b32 s39, s16
	s_mov_b64 s[16:17], 0
	s_lshl_b64 s[52:53], s[6:7], 2
	s_branch .LBB74_3
.LBB74_2:                               ;   in Loop: Header=BB74_3 Depth=1
	v_cvt_f32_f64_e32 v3, v[3:4]
	v_add_u32_e32 v0, s63, v0
	v_cmp_le_i32_e32 vcc, s11, v0
	s_or_b64 s[16:17], vcc, s[16:17]
	global_store_dword v[1:2], v3, off
	s_andn2_b64 exec, exec, s[16:17]
	s_cbranch_execz .LBB74_35
.LBB74_3:                               ; =>This Loop Header: Depth=1
                                        ;     Child Loop BB74_8 Depth 2
                                        ;       Child Loop BB74_17 Depth 3
                                        ;         Child Loop BB74_24 Depth 4
                                        ;           Child Loop BB74_31 Depth 5
	v_sub_u32_e32 v1, 0, v0
	v_max_i32_e32 v2, v0, v1
	v_mul_hi_u32 v1, v2, v18
	v_ashrrev_i32_e32 v3, 31, v0
	v_xor_b32_e32 v5, s7, v3
	s_mov_b64 s[54:55], -1
	v_mul_lo_u32 v4, v1, s66
	v_add_u32_e32 v6, 1, v1
	v_sub_u32_e32 v4, v2, v4
	v_cmp_le_u32_e32 vcc, s66, v4
	v_cndmask_b32_e32 v1, v1, v6, vcc
	v_subrev_u32_e32 v6, s66, v4
	v_cndmask_b32_e32 v4, v4, v6, vcc
	v_add_u32_e32 v6, 1, v1
	v_cmp_le_u32_e32 vcc, s66, v4
	v_cndmask_b32_e32 v1, v1, v6, vcc
	v_xor_b32_e32 v1, v1, v5
	v_sub_u32_e32 v4, v1, v5
	v_sub_u32_e32 v1, 0, v4
	v_max_i32_e32 v5, v4, v1
	v_mul_hi_u32 v1, v5, v19
	v_mul_hi_u32 v6, v2, v20
	v_mul_lo_u32 v7, v4, s6
	v_mul_lo_u32 v8, v1, s67
	;; [unrolled: 1-line block ×3, first 2 shown]
	v_sub_u32_e32 v1, v0, v7
	v_sub_u32_e32 v5, v5, v8
	v_subrev_u32_e32 v7, s67, v5
	v_cmp_le_u32_e32 vcc, s67, v5
	v_sub_u32_e32 v2, v2, v9
	v_cndmask_b32_e32 v5, v5, v7, vcc
	v_subrev_u32_e32 v7, s65, v2
	v_cmp_le_u32_e64 s[0:1], s65, v2
	v_cndmask_b32_e64 v2, v2, v7, s[0:1]
	v_cmp_le_u32_e64 s[4:5], s67, v5
	v_cmp_le_u32_e64 s[2:3], s65, v2
	s_andn2_b64 vcc, exec, s[8:9]
	s_cbranch_vccnz .LBB74_5
; %bb.4:                                ;   in Loop: Header=BB74_3 Depth=1
	v_ashrrev_i32_e32 v2, 31, v1
	s_mov_b64 s[54:55], 0
.LBB74_5:                               ;   in Loop: Header=BB74_3 Depth=1
	v_subrev_u32_e32 v7, s67, v5
	v_ashrrev_i32_e32 v4, 31, v4
	v_cndmask_b32_e64 v5, v5, v7, s[4:5]
	v_xor_b32_e32 v7, s64, v3
	v_add_u32_e32 v3, 1, v6
	v_xor_b32_e32 v5, v5, v4
	v_cndmask_b32_e64 v3, v6, v3, s[0:1]
	v_sub_u32_e32 v5, v5, v4
	v_add_u32_e32 v4, 1, v3
	v_cndmask_b32_e64 v3, v3, v4, s[2:3]
	v_xor_b32_e32 v6, v3, v7
	v_mov_b32_e32 v3, 0
	v_mov_b32_e32 v4, 0
	s_andn2_b64 vcc, exec, s[54:55]
	v_sub_u32_e32 v23, v6, v7
	s_cbranch_vccnz .LBB74_33
; %bb.6:                                ;   in Loop: Header=BB74_3 Depth=1
	v_ashrrev_i32_e32 v2, 31, v1
	v_lshlrev_b64 v[3:4], 2, v[1:2]
	v_mov_b32_e32 v7, s74
	v_add_co_u32_e32 v6, vcc, s73, v3
	v_addc_co_u32_e32 v7, vcc, v7, v4, vcc
	v_mov_b32_e32 v3, 0
	v_add_u32_e32 v24, s37, v5
	v_mov_b32_e32 v4, 0
	s_mov_b32 s4, 0
	s_branch .LBB74_8
.LBB74_7:                               ;   in Loop: Header=BB74_8 Depth=2
	s_add_i32 s4, s4, 1
	v_mov_b32_e32 v8, s27
	v_add_co_u32_e32 v6, vcc, s26, v6
	s_cmp_eq_u32 s4, s38
	v_addc_co_u32_e32 v7, vcc, v7, v8, vcc
	s_cbranch_scc1 .LBB74_33
.LBB74_8:                               ;   Parent Loop BB74_3 Depth=1
                                        ; =>  This Loop Header: Depth=2
                                        ;       Child Loop BB74_17 Depth 3
                                        ;         Child Loop BB74_24 Depth 4
                                        ;           Child Loop BB74_31 Depth 5
	s_mul_i32 s0, s20, s4
	s_sub_i32 s76, s23, s0
	s_cmp_gt_i32 s76, -1
	s_cbranch_scc0 .LBB74_10
; %bb.9:                                ;   in Loop: Header=BB74_8 Depth=2
	s_abs_i32 s0, s76
	s_mul_hi_u32 s54, s0, s62
	s_mul_i32 s1, s54, s61
	s_sub_i32 s55, s0, s1
	s_ashr_i32 s5, s76, 31
	s_sub_i32 s75, s55, s61
	s_cmp_ge_u32 s55, s61
	s_cselect_b32 s0, s75, s55
	s_sub_i32 s1, s0, s61
	s_cmp_ge_u32 s0, s61
	s_cselect_b32 s0, s1, s0
	s_xor_b32 s0, s0, s5
	s_sub_i32 s0, s0, s5
	s_cmp_lg_u32 s0, 0
	s_cselect_b64 s[0:1], -1, 0
	s_cbranch_execz .LBB74_11
	s_branch .LBB74_12
.LBB74_10:                              ;   in Loop: Header=BB74_8 Depth=2
	s_mov_b64 s[0:1], 0
                                        ; implicit-def: $sgpr5
                                        ; implicit-def: $sgpr54
                                        ; implicit-def: $sgpr55
                                        ; implicit-def: $sgpr75
.LBB74_11:                              ;   in Loop: Header=BB74_8 Depth=2
	s_abs_i32 s0, s76
	s_mul_hi_u32 s54, s0, s62
	s_mul_i32 s1, s54, s61
	s_sub_i32 s55, s0, s1
	s_ashr_i32 s5, s76, 31
	s_sub_i32 s75, s55, s61
	s_mov_b64 s[0:1], -1
.LBB74_12:                              ;   in Loop: Header=BB74_8 Depth=2
	s_andn2_b64 vcc, exec, s[0:1]
	s_mov_b32 s0, 1
	s_cbranch_vccz .LBB74_14
; %bb.13:                               ;   in Loop: Header=BB74_8 Depth=2
	s_andn2_b64 vcc, exec, s[24:25]
	s_cbranch_vccz .LBB74_15
	s_branch .LBB74_7
.LBB74_14:                              ;   in Loop: Header=BB74_8 Depth=2
	s_mov_b32 s0, 0
	s_andn2_b64 vcc, exec, s[24:25]
	s_cbranch_vccnz .LBB74_7
.LBB74_15:                              ;   in Loop: Header=BB74_8 Depth=2
	s_xor_b32 s1, s5, s68
	s_add_i32 s2, s54, 1
	s_cmp_ge_u32 s55, s61
	s_cselect_b32 s2, s2, s54
	s_cselect_b32 s3, s75, s55
	s_add_i32 s5, s2, 1
	s_cmp_ge_u32 s3, s61
	s_cselect_b32 s2, s5, s2
	s_xor_b32 s2, s2, s1
	s_sub_i32 s1, s2, s1
	s_cmp_lt_i32 s1, s14
	v_mov_b32_e32 v9, v7
	s_mov_b32 s5, 0
	s_cselect_b32 s54, s0, 0
	s_mul_hi_i32 s55, s1, s15
	s_mul_i32 s75, s1, s15
	v_mov_b32_e32 v8, v6
	s_branch .LBB74_17
.LBB74_16:                              ;   in Loop: Header=BB74_17 Depth=3
	s_add_i32 s5, s5, 1
	v_mov_b32_e32 v10, s49
	v_add_co_u32_e32 v8, vcc, s48, v8
	s_cmp_eq_u32 s5, s13
	v_addc_co_u32_e32 v9, vcc, v9, v10, vcc
	s_cbranch_scc1 .LBB74_7
.LBB74_17:                              ;   Parent Loop BB74_3 Depth=1
                                        ;     Parent Loop BB74_8 Depth=2
                                        ; =>    This Loop Header: Depth=3
                                        ;         Child Loop BB74_24 Depth 4
                                        ;           Child Loop BB74_31 Depth 5
	s_mul_i32 s0, s21, s5
	v_add_u32_e32 v10, s36, v23
	v_subrev_u32_e32 v10, s0, v10
	v_cmp_gt_i32_e64 s[0:1], 0, v10
	v_cmp_lt_i32_e32 vcc, -1, v10
	v_ashrrev_i32_e32 v11, 31, v10
	v_sub_u32_e32 v12, 0, v10
	s_and_saveexec_b64 s[2:3], vcc
	s_cbranch_execnz .LBB74_20
; %bb.18:                               ;   in Loop: Header=BB74_17 Depth=3
	s_or_b64 exec, exec, s[2:3]
	v_mov_b32_e32 v13, 1
	s_and_saveexec_b64 s[2:3], s[0:1]
	s_cbranch_execnz .LBB74_21
.LBB74_19:                              ;   in Loop: Header=BB74_17 Depth=3
	s_or_b64 exec, exec, s[2:3]
	s_andn2_b64 vcc, exec, s[40:41]
	s_cbranch_vccz .LBB74_22
	s_branch .LBB74_16
.LBB74_20:                              ;   in Loop: Header=BB74_17 Depth=3
	v_max_i32_e32 v13, v10, v12
	v_mul_hi_u32 v14, v13, v21
	s_andn2_b64 s[0:1], s[0:1], exec
	v_mul_lo_u32 v14, v14, s70
	v_sub_u32_e32 v13, v13, v14
	v_subrev_u32_e32 v14, s70, v13
	v_cmp_le_u32_e32 vcc, s70, v13
	v_cndmask_b32_e32 v13, v13, v14, vcc
	v_subrev_u32_e32 v14, s70, v13
	v_cmp_le_u32_e32 vcc, s70, v13
	v_cndmask_b32_e32 v13, v13, v14, vcc
	v_xor_b32_e32 v13, v13, v11
	v_sub_u32_e32 v13, v13, v11
	v_cmp_ne_u32_e32 vcc, 0, v13
	s_and_b64 s[76:77], vcc, exec
	s_or_b64 s[0:1], s[0:1], s[76:77]
	s_or_b64 exec, exec, s[2:3]
	v_mov_b32_e32 v13, 1
	s_and_saveexec_b64 s[2:3], s[0:1]
	s_cbranch_execz .LBB74_19
.LBB74_21:                              ;   in Loop: Header=BB74_17 Depth=3
	v_mov_b32_e32 v13, 0
	s_or_b64 exec, exec, s[2:3]
	s_andn2_b64 vcc, exec, s[40:41]
	s_cbranch_vccnz .LBB74_16
.LBB74_22:                              ;   in Loop: Header=BB74_17 Depth=3
	v_max_i32_e32 v10, v10, v12
	v_mul_hi_u32 v12, v10, v21
	v_xor_b32_e32 v11, s69, v11
	s_mov_b32 s76, 0
	v_mul_lo_u32 v14, v12, s70
	v_add_u32_e32 v15, 1, v12
	v_sub_u32_e32 v10, v10, v14
	v_cmp_le_u32_e32 vcc, s70, v10
	v_subrev_u32_e32 v14, s70, v10
	v_cndmask_b32_e32 v12, v12, v15, vcc
	v_cndmask_b32_e32 v10, v10, v14, vcc
	v_add_u32_e32 v14, 1, v12
	v_cmp_le_u32_e32 vcc, s70, v10
	v_cndmask_b32_e32 v10, v12, v14, vcc
	v_xor_b32_e32 v10, v10, v11
	v_sub_u32_e32 v12, v10, v11
	v_ashrrev_i32_e32 v10, 31, v12
	v_mov_b32_e32 v11, s55
	v_add_co_u32_e32 v14, vcc, s75, v12
	v_addc_co_u32_e32 v10, vcc, v11, v10, vcc
	v_mul_lo_u32 v15, v10, s39
	v_mul_lo_u32 v16, v14, s59
	v_mad_u64_u32 v[10:11], s[0:1], v14, s39, 0
	v_cmp_gt_i32_e32 vcc, s15, v12
	v_cndmask_b32_e32 v12, 0, v13, vcc
	v_and_b32_e32 v25, s54, v12
	v_mov_b32_e32 v13, v9
	v_add3_u32 v11, v11, v16, v15
	v_mov_b32_e32 v12, v8
	s_branch .LBB74_24
.LBB74_23:                              ;   in Loop: Header=BB74_24 Depth=4
	s_add_i32 s76, s76, 1
	v_mov_b32_e32 v14, s53
	v_add_co_u32_e32 v12, vcc, s52, v12
	s_cmp_eq_u32 s76, s34
	v_addc_co_u32_e32 v13, vcc, v13, v14, vcc
	s_cbranch_scc1 .LBB74_16
.LBB74_24:                              ;   Parent Loop BB74_3 Depth=1
                                        ;     Parent Loop BB74_8 Depth=2
                                        ;       Parent Loop BB74_17 Depth=3
                                        ; =>      This Loop Header: Depth=4
                                        ;           Child Loop BB74_31 Depth 5
	s_mul_i32 s0, s22, s76
	v_subrev_u32_e32 v14, s0, v24
	v_sub_u32_e32 v16, 0, v14
	v_cmp_gt_i32_e64 s[0:1], 0, v14
	v_cmp_lt_i32_e32 vcc, -1, v14
	v_ashrrev_i32_e32 v15, 31, v14
	v_max_i32_e32 v14, v14, v16
	s_and_saveexec_b64 s[2:3], vcc
	s_cbranch_execnz .LBB74_27
; %bb.25:                               ;   in Loop: Header=BB74_24 Depth=4
	s_or_b64 exec, exec, s[2:3]
	v_mov_b32_e32 v16, 1
	s_and_saveexec_b64 s[2:3], s[0:1]
	s_cbranch_execnz .LBB74_28
.LBB74_26:                              ;   in Loop: Header=BB74_24 Depth=4
	s_or_b64 exec, exec, s[2:3]
	s_andn2_b64 vcc, exec, s[42:43]
	s_cbranch_vccz .LBB74_29
	s_branch .LBB74_23
.LBB74_27:                              ;   in Loop: Header=BB74_24 Depth=4
	v_mul_hi_u32 v16, v14, v22
	s_andn2_b64 s[0:1], s[0:1], exec
	v_mul_lo_u32 v16, v16, s72
	v_sub_u32_e32 v16, v14, v16
	v_subrev_u32_e32 v17, s72, v16
	v_cmp_le_u32_e32 vcc, s72, v16
	v_cndmask_b32_e32 v16, v16, v17, vcc
	v_subrev_u32_e32 v17, s72, v16
	v_cmp_le_u32_e32 vcc, s72, v16
	v_cndmask_b32_e32 v16, v16, v17, vcc
	v_xor_b32_e32 v16, v16, v15
	v_sub_u32_e32 v16, v16, v15
	v_cmp_ne_u32_e32 vcc, 0, v16
	s_and_b64 s[78:79], vcc, exec
	s_or_b64 s[0:1], s[0:1], s[78:79]
	s_or_b64 exec, exec, s[2:3]
	v_mov_b32_e32 v16, 1
	s_and_saveexec_b64 s[2:3], s[0:1]
	s_cbranch_execz .LBB74_26
.LBB74_28:                              ;   in Loop: Header=BB74_24 Depth=4
	v_mov_b32_e32 v16, 0
	s_or_b64 exec, exec, s[2:3]
	s_andn2_b64 vcc, exec, s[42:43]
	s_cbranch_vccnz .LBB74_23
.LBB74_29:                              ;   in Loop: Header=BB74_24 Depth=4
	v_mul_hi_u32 v17, v14, v22
	v_xor_b32_e32 v15, s71, v15
	s_mov_b32 s2, s12
	v_mul_lo_u32 v26, v17, s72
	v_add_u32_e32 v27, 1, v17
	v_sub_u32_e32 v14, v14, v26
	v_cmp_le_u32_e32 vcc, s72, v14
	v_subrev_u32_e32 v26, s72, v14
	v_cndmask_b32_e32 v17, v17, v27, vcc
	v_cndmask_b32_e32 v14, v14, v26, vcc
	v_add_u32_e32 v26, 1, v17
	v_cmp_le_u32_e32 vcc, s72, v14
	v_cndmask_b32_e32 v14, v17, v26, vcc
	v_xor_b32_e32 v14, v14, v15
	v_sub_u32_e32 v14, v14, v15
	v_cmp_gt_i32_e32 vcc, s39, v14
	v_cndmask_b32_e32 v16, 0, v16, vcc
	v_ashrrev_i32_e32 v15, 31, v14
	v_add_co_u32_e32 v14, vcc, v10, v14
	v_addc_co_u32_e32 v15, vcc, v11, v15, vcc
	v_lshlrev_b64 v[14:15], 2, v[14:15]
	v_mov_b32_e32 v17, s47
	v_add_co_u32_e32 v26, vcc, s46, v14
	v_addc_co_u32_e32 v14, vcc, v17, v15, vcc
	v_mul_lo_u32 v17, s33, v14
	v_mov_b32_e32 v14, s18
	v_mov_b32_e32 v15, s19
	v_mul_lo_u32 v27, s60, v26
	v_mad_u64_u32 v[14:15], s[0:1], s33, v26, v[14:15]
	v_and_b32_e32 v16, v25, v16
	v_and_b32_e32 v16, 1, v16
	v_cmp_eq_u32_e32 vcc, 1, v16
	v_add3_u32 v15, v27, v15, v17
	v_mov_b32_e32 v17, v13
	v_mov_b32_e32 v16, v12
	s_branch .LBB74_31
.LBB74_30:                              ;   in Loop: Header=BB74_31 Depth=5
	s_or_b64 exec, exec, s[0:1]
	v_add_co_u32_e64 v14, s[0:1], 4, v14
	v_addc_co_u32_e64 v15, s[0:1], 0, v15, s[0:1]
	s_add_i32 s2, s2, -1
	v_mov_b32_e32 v26, s51
	v_add_co_u32_e64 v16, s[0:1], s50, v16
	s_cmp_eq_u32 s2, 0
	v_addc_co_u32_e64 v17, s[0:1], v17, v26, s[0:1]
	s_cbranch_scc1 .LBB74_23
.LBB74_31:                              ;   Parent Loop BB74_3 Depth=1
                                        ;     Parent Loop BB74_8 Depth=2
                                        ;       Parent Loop BB74_17 Depth=3
                                        ;         Parent Loop BB74_24 Depth=4
                                        ; =>        This Inner Loop Header: Depth=5
	s_and_saveexec_b64 s[0:1], vcc
	s_cbranch_execz .LBB74_30
; %bb.32:                               ;   in Loop: Header=BB74_31 Depth=5
	global_load_dword v26, v[14:15], off
	global_load_dword v28, v[16:17], off
	s_waitcnt vmcnt(1)
	v_cvt_f64_f32_e32 v[26:27], v26
	s_waitcnt vmcnt(0)
	v_cvt_f64_f32_e32 v[28:29], v28
	v_fma_f64 v[3:4], v[26:27], v[28:29], v[3:4]
	s_branch .LBB74_30
.LBB74_33:                              ;   in Loop: Header=BB74_3 Depth=1
	v_ashrrev_i32_e32 v6, 31, v5
	v_mad_i64_i32 v[5:6], s[0:1], v23, s10, v[5:6]
	v_lshlrev_b64 v[1:2], 2, v[1:2]
	v_mov_b32_e32 v9, s58
	v_mul_lo_u32 v7, v6, s35
	v_mul_lo_u32 v8, v5, s56
	v_mad_u64_u32 v[5:6], s[0:1], v5, s35, 0
	v_add3_u32 v6, v6, v8, v7
	v_lshlrev_b64 v[5:6], 2, v[5:6]
	v_add_co_u32_e32 v5, vcc, s57, v5
	v_addc_co_u32_e32 v6, vcc, v9, v6, vcc
	v_add_co_u32_e64 v1, s[0:1], v5, v1
	s_andn2_b64 vcc, exec, s[44:45]
	v_addc_co_u32_e64 v2, s[0:1], v6, v2, s[0:1]
	s_cbranch_vccnz .LBB74_2
; %bb.34:                               ;   in Loop: Header=BB74_3 Depth=1
	global_load_dword v5, v[1:2], off
	s_waitcnt vmcnt(0)
	v_cvt_f64_f32_e32 v[5:6], v5
	v_mul_f64 v[5:6], s[30:31], v[5:6]
	v_fma_f64 v[3:4], s[28:29], v[3:4], v[5:6]
	s_branch .LBB74_2
.LBB74_35:
	s_endpgm
	.section	.rodata,"a",@progbits
	.p2align	6, 0x0
	.amdhsa_kernel naive_conv_ab_packed_bwd_ndhwc_float_double_float
		.amdhsa_group_segment_fixed_size 0
		.amdhsa_private_segment_fixed_size 0
		.amdhsa_kernarg_size 528
		.amdhsa_user_sgpr_count 6
		.amdhsa_user_sgpr_private_segment_buffer 1
		.amdhsa_user_sgpr_dispatch_ptr 0
		.amdhsa_user_sgpr_queue_ptr 0
		.amdhsa_user_sgpr_kernarg_segment_ptr 1
		.amdhsa_user_sgpr_dispatch_id 0
		.amdhsa_user_sgpr_flat_scratch_init 0
		.amdhsa_user_sgpr_private_segment_size 0
		.amdhsa_uses_dynamic_stack 0
		.amdhsa_system_sgpr_private_segment_wavefront_offset 0
		.amdhsa_system_sgpr_workgroup_id_x 1
		.amdhsa_system_sgpr_workgroup_id_y 0
		.amdhsa_system_sgpr_workgroup_id_z 0
		.amdhsa_system_sgpr_workgroup_info 0
		.amdhsa_system_vgpr_workitem_id 0
		.amdhsa_next_free_vgpr 30
		.amdhsa_next_free_sgpr 80
		.amdhsa_reserve_vcc 1
		.amdhsa_reserve_flat_scratch 0
		.amdhsa_float_round_mode_32 0
		.amdhsa_float_round_mode_16_64 0
		.amdhsa_float_denorm_mode_32 3
		.amdhsa_float_denorm_mode_16_64 3
		.amdhsa_dx10_clamp 1
		.amdhsa_ieee_mode 1
		.amdhsa_fp16_overflow 0
		.amdhsa_exception_fp_ieee_invalid_op 0
		.amdhsa_exception_fp_denorm_src 0
		.amdhsa_exception_fp_ieee_div_zero 0
		.amdhsa_exception_fp_ieee_overflow 0
		.amdhsa_exception_fp_ieee_underflow 0
		.amdhsa_exception_fp_ieee_inexact 0
		.amdhsa_exception_int_div_zero 0
	.end_amdhsa_kernel
	.text
.Lfunc_end74:
	.size	naive_conv_ab_packed_bwd_ndhwc_float_double_float, .Lfunc_end74-naive_conv_ab_packed_bwd_ndhwc_float_double_float
                                        ; -- End function
	.set naive_conv_ab_packed_bwd_ndhwc_float_double_float.num_vgpr, 30
	.set naive_conv_ab_packed_bwd_ndhwc_float_double_float.num_agpr, 0
	.set naive_conv_ab_packed_bwd_ndhwc_float_double_float.numbered_sgpr, 80
	.set naive_conv_ab_packed_bwd_ndhwc_float_double_float.num_named_barrier, 0
	.set naive_conv_ab_packed_bwd_ndhwc_float_double_float.private_seg_size, 0
	.set naive_conv_ab_packed_bwd_ndhwc_float_double_float.uses_vcc, 1
	.set naive_conv_ab_packed_bwd_ndhwc_float_double_float.uses_flat_scratch, 0
	.set naive_conv_ab_packed_bwd_ndhwc_float_double_float.has_dyn_sized_stack, 0
	.set naive_conv_ab_packed_bwd_ndhwc_float_double_float.has_recursion, 0
	.set naive_conv_ab_packed_bwd_ndhwc_float_double_float.has_indirect_call, 0
	.section	.AMDGPU.csdata,"",@progbits
; Kernel info:
; codeLenInByte = 2688
; TotalNumSgprs: 84
; NumVgprs: 30
; ScratchSize: 0
; MemoryBound: 0
; FloatMode: 240
; IeeeMode: 1
; LDSByteSize: 0 bytes/workgroup (compile time only)
; SGPRBlocks: 10
; VGPRBlocks: 7
; NumSGPRsForWavesPerEU: 84
; NumVGPRsForWavesPerEU: 30
; Occupancy: 8
; WaveLimiterHint : 1
; COMPUTE_PGM_RSRC2:SCRATCH_EN: 0
; COMPUTE_PGM_RSRC2:USER_SGPR: 6
; COMPUTE_PGM_RSRC2:TRAP_HANDLER: 0
; COMPUTE_PGM_RSRC2:TGID_X_EN: 1
; COMPUTE_PGM_RSRC2:TGID_Y_EN: 0
; COMPUTE_PGM_RSRC2:TGID_Z_EN: 0
; COMPUTE_PGM_RSRC2:TIDIG_COMP_CNT: 0
	.text
	.protected	naive_conv_ab_nonpacked_bwd_ndhwc_float_double_float ; -- Begin function naive_conv_ab_nonpacked_bwd_ndhwc_float_double_float
	.globl	naive_conv_ab_nonpacked_bwd_ndhwc_float_double_float
	.p2align	8
	.type	naive_conv_ab_nonpacked_bwd_ndhwc_float_double_float,@function
naive_conv_ab_nonpacked_bwd_ndhwc_float_double_float: ; @naive_conv_ab_nonpacked_bwd_ndhwc_float_double_float
; %bb.0:
	s_load_dwordx16 s[8:23], s[4:5], 0xb8
	s_abs_i32 s0, s6
	s_waitcnt lgkmcnt(0)
	s_abs_i32 s1, s8
	v_cvt_f32_u32_e32 v1, s1
	s_sub_i32 s2, 0, s1
	s_mul_i32 s3, s11, s8
	v_rcp_iflag_f32_e32 v1, v1
	v_mul_f32_e32 v1, 0x4f7ffffe, v1
	v_cvt_u32_f32_e32 v1, v1
	v_readfirstlane_b32 s7, v1
	s_mul_i32 s2, s2, s7
	s_mul_hi_u32 s2, s7, s2
	s_add_i32 s7, s7, s2
	s_mul_hi_u32 s2, s0, s7
	s_mul_i32 s7, s2, s1
	s_sub_i32 s7, s0, s7
	s_add_i32 s24, s2, 1
	s_sub_i32 s25, s7, s1
	s_cmp_ge_u32 s7, s1
	s_cselect_b32 s2, s24, s2
	s_cselect_b32 s7, s25, s7
	s_add_i32 s24, s2, 1
	s_cmp_ge_u32 s7, s1
	s_cselect_b32 s7, s24, s2
	s_abs_i32 s2, s11
	s_abs_i32 s1, s3
	v_cvt_f32_u32_e32 v1, s2
	v_cvt_f32_u32_e32 v2, s1
	s_mul_i32 s11, s13, s10
	s_mul_i32 s33, s11, s9
	v_rcp_iflag_f32_e32 v1, v1
	v_rcp_iflag_f32_e32 v2, v2
	v_cmp_gt_i32_e32 vcc, s33, v0
	v_mul_f32_e32 v1, 0x4f7ffffe, v1
	v_mul_f32_e32 v2, 0x4f7ffffe, v2
	v_cvt_u32_f32_e32 v1, v1
	v_cvt_u32_f32_e32 v2, v2
	v_readfirstlane_b32 s34, v1
	v_readfirstlane_b32 s9, v2
	s_and_saveexec_b64 s[24:25], vcc
	s_cbranch_execz .LBB75_35
; %bb.1:
	s_ashr_i32 s35, s6, 31
	s_ashr_i32 s36, s8, 31
	s_xor_b32 s36, s35, s36
	s_xor_b32 s7, s7, s36
	s_sub_i32 s7, s7, s36
	s_sub_i32 s36, 0, s2
	s_mul_i32 s36, s36, s34
	s_mul_hi_u32 s36, s34, s36
	s_abs_i32 s53, s7
	s_add_i32 s34, s34, s36
	s_mul_hi_u32 s34, s53, s34
	s_sub_i32 s36, 0, s1
	s_ashr_i32 s52, s7, 31
	s_mul_i32 s36, s36, s9
	s_mul_i32 s7, s7, s8
	;; [unrolled: 1-line block ×3, first 2 shown]
	s_mul_hi_u32 s36, s9, s36
	s_sub_i32 s8, s6, s7
	s_sub_i32 s6, s53, s34
	s_ashr_i32 s3, s3, 31
	s_add_i32 s9, s9, s36
	s_sub_i32 s7, s6, s2
	s_cmp_ge_u32 s6, s2
	s_cselect_b32 s6, s7, s6
	s_sub_i32 s7, s6, s2
	s_cmp_ge_u32 s6, s2
	s_cselect_b32 s2, s7, s6
	s_mul_hi_u32 s9, s0, s9
	s_xor_b32 s2, s2, s52
	s_sub_i32 s83, s2, s52
	s_xor_b32 s2, s35, s3
	s_mul_i32 s3, s9, s1
	s_sub_i32 s0, s0, s3
	s_add_i32 s3, s9, 1
	s_sub_i32 s6, s0, s1
	s_cmp_ge_u32 s0, s1
	s_cselect_b32 s3, s3, s9
	s_load_dwordx16 s[36:51], s[4:5], 0x28
	s_cselect_b32 s0, s6, s0
	s_add_i32 s6, s3, 1
	s_cmp_ge_u32 s0, s1
	s_cselect_b32 s0, s6, s3
	s_xor_b32 s0, s0, s2
	s_load_dwordx8 s[24:31], s[4:5], 0x0
	s_sub_i32 s84, s0, s2
	s_ashr_i32 s85, s83, 31
	s_waitcnt lgkmcnt(0)
	s_mul_i32 s0, s46, s85
	s_mul_hi_u32 s1, s46, s83
	s_ashr_i32 s2, s8, 31
	s_ashr_i32 s86, s84, 31
	s_add_i32 s0, s1, s0
	s_mul_i32 s1, s47, s83
	s_mul_i32 s2, s44, s2
	s_mul_hi_u32 s3, s44, s8
	s_mul_i32 s6, s38, s86
	s_mul_hi_u32 s7, s38, s84
	s_add_i32 s1, s0, s1
	s_mul_i32 s0, s46, s83
	s_add_i32 s2, s3, s2
	s_mul_i32 s3, s45, s8
	s_add_i32 s6, s7, s6
	s_mul_i32 s7, s39, s84
	s_add_i32 s3, s2, s3
	s_add_i32 s7, s6, s7
	s_lshl_b64 s[0:1], s[0:1], 2
	s_mul_i32 s2, s44, s8
	s_add_u32 s6, s24, s0
	s_addc_u32 s9, s25, s1
	s_lshl_b64 s[0:1], s[2:3], 2
	s_add_u32 s24, s6, s0
	s_addc_u32 s9, s9, s1
	s_load_dwordx4 s[44:47], s[4:5], 0xf8
	s_load_dwordx4 s[0:3], s[4:5], 0xa8
	s_mul_i32 s6, s38, s84
	s_lshl_b64 s[6:7], s[6:7], 2
	s_add_u32 s68, s24, s6
	s_load_dword s70, s[4:5], 0x108
	s_load_dword s73, s[4:5], 0x11c
	s_addc_u32 s69, s9, s7
	s_waitcnt lgkmcnt(0)
	s_cmp_lt_i32 s46, 1
	s_cselect_b64 s[6:7], -1, 0
	s_add_i32 s23, s8, s23
	s_cmp_gt_i32 s47, 0
	s_cselect_b64 s[8:9], -1, 0
	s_cmp_gt_i32 s70, 0
	s_cselect_b64 s[24:25], -1, 0
	;; [unrolled: 2-line block ×3, first 2 shown]
	s_abs_i32 s71, s17
	v_cvt_f32_u32_e32 v1, s71
	v_cmp_neq_f64_e64 s[38:39], s[28:29], 1.0
	v_cmp_neq_f64_e64 s[52:53], s[30:31], 0
	s_sub_i32 s72, 0, s71
	v_rcp_iflag_f32_e32 v1, v1
	s_abs_i32 s77, s13
	s_abs_i32 s78, s10
	;; [unrolled: 1-line block ×3, first 2 shown]
	v_mul_f32_e32 v1, 0x4f7ffffe, v1
	v_cvt_u32_f32_e32 v1, v1
	s_or_b64 s[38:39], s[38:39], s[52:53]
	s_load_dwordx16 s[52:67], s[4:5], 0x68
	s_abs_i32 s82, s19
	v_readfirstlane_b32 s74, v1
	s_mul_i32 s72, s72, s74
	v_cvt_f32_u32_e32 v1, s77
	s_mul_hi_u32 s72, s74, s72
	s_add_i32 s72, s74, s72
	s_waitcnt lgkmcnt(0)
	s_mul_i32 s74, s58, s86
	s_mul_hi_u32 s75, s58, s84
	s_add_i32 s76, s75, s74
	s_abs_i32 s75, s11
	v_rcp_iflag_f32_e32 v1, v1
	v_cvt_f32_u32_e32 v3, s78
	v_cvt_f32_u32_e32 v5, s75
	;; [unrolled: 1-line block ×4, first 2 shown]
	v_mul_f32_e32 v1, 0x4f7ffffe, v1
	v_rcp_iflag_f32_e32 v3, v3
	v_rcp_iflag_f32_e32 v5, v5
	;; [unrolled: 1-line block ×4, first 2 shown]
	v_cvt_u32_f32_e32 v1, v1
	s_ashr_i32 s74, s11, 31
	s_mul_i32 s11, s59, s84
	s_add_i32 s59, s76, s11
	s_mul_i32 s58, s58, s84
	s_and_b32 s73, s73, 0xffff
	s_lshl_b64 s[58:59], s[58:59], 2
	s_ashr_i32 s76, s13, 31
	s_sub_i32 s87, 0, s77
	s_sub_i32 s88, 0, s78
	;; [unrolled: 1-line block ×3, first 2 shown]
	s_ashr_i32 s17, s17, 31
	s_ashr_i32 s79, s18, 31
	s_sub_i32 s90, 0, s80
	s_ashr_i32 s81, s19, 31
	s_sub_i32 s91, 0, s82
	v_mul_f32_e32 v3, 0x4f7ffffe, v3
	v_mul_f32_e32 v5, 0x4f7ffffe, v5
	;; [unrolled: 1-line block ×4, first 2 shown]
	s_add_u32 s10, s26, s58
	v_mul_lo_u32 v2, s87, v1
	v_cvt_u32_f32_e32 v3, v3
	v_cvt_u32_f32_e32 v5, v5
	;; [unrolled: 1-line block ×4, first 2 shown]
	s_addc_u32 s11, s27, s59
	s_mul_i32 s18, s62, s86
	s_mul_hi_u32 s19, s62, s84
	s_mul_i32 s26, s2, s85
	s_mul_hi_u32 s27, s2, s83
	s_add_i32 s18, s19, s18
	s_mul_i32 s19, s63, s84
	s_add_i32 s26, s27, s26
	s_mul_i32 s3, s3, s83
	;; [unrolled: 2-line block ×4, first 2 shown]
	s_lshl_b64 s[58:59], s[18:19], 2
	s_lshl_b64 s[2:3], s[2:3], 2
	;; [unrolled: 1-line block ×7, first 2 shown]
	v_mul_lo_u32 v4, s88, v3
	v_mul_lo_u32 v6, s89, v5
	;; [unrolled: 1-line block ×4, first 2 shown]
	v_mul_hi_u32 v2, v1, v2
	s_add_u32 s54, s58, s2
	s_addc_u32 s55, s59, s3
	s_load_dwordx2 s[2:3], s[4:5], 0x20
	v_add_u32_e32 v15, v1, v2
	v_mul_hi_u32 v1, v3, v4
	v_mul_hi_u32 v2, v5, v6
	;; [unrolled: 1-line block ×4, first 2 shown]
	s_waitcnt lgkmcnt(0)
	s_add_u32 s83, s2, s54
	s_addc_u32 s84, s3, s55
	s_lshl_b64 s[54:55], s[66:67], 2
	s_lshl_b64 s[56:57], s[64:65], 2
	;; [unrolled: 1-line block ×4, first 2 shown]
	v_add_u32_e32 v16, v3, v1
	v_add_u32_e32 v17, v5, v2
	;; [unrolled: 1-line block ×4, first 2 shown]
	s_mov_b64 s[62:63], 0
	s_branch .LBB75_3
.LBB75_2:                               ;   in Loop: Header=BB75_3 Depth=1
	v_cvt_f32_f64_e32 v1, v[1:2]
	v_add_u32_e32 v0, s73, v0
	v_cmp_le_i32_e32 vcc, s33, v0
	s_or_b64 s[62:63], vcc, s[62:63]
	global_store_dword v[3:4], v1, off
	s_andn2_b64 exec, exec, s[62:63]
	s_cbranch_execz .LBB75_35
.LBB75_3:                               ; =>This Loop Header: Depth=1
                                        ;     Child Loop BB75_8 Depth 2
                                        ;       Child Loop BB75_17 Depth 3
                                        ;         Child Loop BB75_24 Depth 4
                                        ;           Child Loop BB75_31 Depth 5
	v_sub_u32_e32 v1, 0, v0
	v_max_i32_e32 v5, v0, v1
	v_mul_hi_u32 v2, v5, v15
	v_ashrrev_i32_e32 v1, 31, v0
	v_xor_b32_e32 v4, s76, v1
	s_mov_b64 s[64:65], -1
	v_mul_lo_u32 v3, v2, s77
	v_add_u32_e32 v6, 1, v2
                                        ; implicit-def: $vgpr21
	v_sub_u32_e32 v3, v5, v3
	v_cmp_le_u32_e32 vcc, s77, v3
	v_cndmask_b32_e32 v2, v2, v6, vcc
	v_subrev_u32_e32 v6, s77, v3
	v_cndmask_b32_e32 v3, v3, v6, vcc
	v_add_u32_e32 v6, 1, v2
	v_cmp_le_u32_e32 vcc, s77, v3
	v_cndmask_b32_e32 v2, v2, v6, vcc
	v_xor_b32_e32 v2, v2, v4
	v_sub_u32_e32 v2, v2, v4
	v_sub_u32_e32 v3, 0, v2
	v_max_i32_e32 v4, v2, v3
	v_mul_hi_u32 v6, v4, v16
	v_mul_hi_u32 v3, v5, v17
	v_mul_lo_u32 v7, v2, s13
	v_mul_lo_u32 v6, v6, s78
	;; [unrolled: 1-line block ×3, first 2 shown]
	v_sub_u32_e32 v20, v0, v7
	v_sub_u32_e32 v4, v4, v6
	v_subrev_u32_e32 v6, s78, v4
	v_cmp_le_u32_e32 vcc, s78, v4
	v_sub_u32_e32 v5, v5, v8
	v_cndmask_b32_e32 v4, v4, v6, vcc
	v_subrev_u32_e32 v6, s75, v5
	v_cmp_le_u32_e64 s[0:1], s75, v5
	v_cndmask_b32_e64 v5, v5, v6, s[0:1]
	v_cmp_le_u32_e64 s[4:5], s78, v4
	v_cmp_le_u32_e64 s[2:3], s75, v5
	s_andn2_b64 vcc, exec, s[6:7]
	s_cbranch_vccnz .LBB75_5
; %bb.4:                                ;   in Loop: Header=BB75_3 Depth=1
	v_ashrrev_i32_e32 v21, 31, v20
	s_mov_b64 s[64:65], 0
.LBB75_5:                               ;   in Loop: Header=BB75_3 Depth=1
	v_subrev_u32_e32 v5, s78, v4
	v_ashrrev_i32_e32 v2, 31, v2
	v_cndmask_b32_e64 v4, v4, v5, s[4:5]
	v_xor_b32_e32 v4, v4, v2
	v_sub_u32_e32 v22, v4, v2
	v_xor_b32_e32 v4, s74, v1
	v_add_u32_e32 v1, 1, v3
	v_cndmask_b32_e64 v1, v3, v1, s[0:1]
	v_add_u32_e32 v2, 1, v1
	v_cndmask_b32_e64 v1, v1, v2, s[2:3]
	v_xor_b32_e32 v3, v1, v4
	v_mov_b32_e32 v1, 0
	v_mov_b32_e32 v2, 0
	s_andn2_b64 vcc, exec, s[64:65]
	v_sub_u32_e32 v23, v3, v4
	s_cbranch_vccnz .LBB75_33
; %bb.6:                                ;   in Loop: Header=BB75_3 Depth=1
	v_mov_b32_e32 v1, s10
	v_ashrrev_i32_e32 v21, 31, v20
	v_mov_b32_e32 v2, s11
	v_mad_u64_u32 v[3:4], s[0:1], s18, v20, v[1:2]
	v_mul_lo_u32 v1, s19, v20
	v_mul_lo_u32 v2, s18, v21
	v_add_u32_e32 v24, s44, v23
	v_add_u32_e32 v25, s45, v22
	s_mov_b32 s64, 0
	v_add3_u32 v4, v1, v4, v2
	v_mov_b32_e32 v1, 0
	v_mov_b32_e32 v2, 0
	s_branch .LBB75_8
.LBB75_7:                               ;   in Loop: Header=BB75_8 Depth=2
	s_add_i32 s64, s64, 1
	v_mov_b32_e32 v5, s27
	v_add_co_u32_e32 v3, vcc, s26, v3
	s_cmp_eq_u32 s64, s46
	v_addc_co_u32_e32 v4, vcc, v4, v5, vcc
	s_cbranch_scc1 .LBB75_33
.LBB75_8:                               ;   Parent Loop BB75_3 Depth=1
                                        ; =>  This Loop Header: Depth=2
                                        ;       Child Loop BB75_17 Depth 3
                                        ;         Child Loop BB75_24 Depth 4
                                        ;           Child Loop BB75_31 Depth 5
	s_mul_i32 s0, s20, s64
	s_sub_i32 s67, s23, s0
	s_cmp_gt_i32 s67, -1
	s_cbranch_scc0 .LBB75_10
; %bb.9:                                ;   in Loop: Header=BB75_8 Depth=2
	s_abs_i32 s0, s67
	s_mul_hi_u32 s5, s0, s72
	s_mul_i32 s1, s5, s71
	s_sub_i32 s65, s0, s1
	s_ashr_i32 s4, s67, 31
	s_sub_i32 s66, s65, s71
	s_cmp_ge_u32 s65, s71
	s_cselect_b32 s0, s66, s65
	s_sub_i32 s1, s0, s71
	s_cmp_ge_u32 s0, s71
	s_cselect_b32 s0, s1, s0
	s_xor_b32 s0, s0, s4
	s_sub_i32 s0, s0, s4
	s_cmp_lg_u32 s0, 0
	s_cselect_b64 s[0:1], -1, 0
	s_cbranch_execz .LBB75_11
	s_branch .LBB75_12
.LBB75_10:                              ;   in Loop: Header=BB75_8 Depth=2
	s_mov_b64 s[0:1], 0
                                        ; implicit-def: $sgpr4
                                        ; implicit-def: $sgpr5
                                        ; implicit-def: $sgpr65
                                        ; implicit-def: $sgpr66
.LBB75_11:                              ;   in Loop: Header=BB75_8 Depth=2
	s_abs_i32 s0, s67
	s_mul_hi_u32 s5, s0, s72
	s_mul_i32 s1, s5, s71
	s_sub_i32 s65, s0, s1
	s_ashr_i32 s4, s67, 31
	s_sub_i32 s66, s65, s71
	s_mov_b64 s[0:1], -1
.LBB75_12:                              ;   in Loop: Header=BB75_8 Depth=2
	s_andn2_b64 vcc, exec, s[0:1]
	s_mov_b32 s0, 1
	s_cbranch_vccz .LBB75_14
; %bb.13:                               ;   in Loop: Header=BB75_8 Depth=2
	s_andn2_b64 vcc, exec, s[8:9]
	s_cbranch_vccz .LBB75_15
	s_branch .LBB75_7
.LBB75_14:                              ;   in Loop: Header=BB75_8 Depth=2
	s_mov_b32 s0, 0
	s_andn2_b64 vcc, exec, s[8:9]
	s_cbranch_vccnz .LBB75_7
.LBB75_15:                              ;   in Loop: Header=BB75_8 Depth=2
	s_xor_b32 s1, s4, s17
	s_add_i32 s2, s5, 1
	s_cmp_ge_u32 s65, s71
	s_cselect_b32 s2, s2, s5
	s_cselect_b32 s3, s66, s65
	s_add_i32 s4, s2, 1
	s_cmp_ge_u32 s3, s71
	s_cselect_b32 s2, s4, s2
	s_xor_b32 s2, s2, s1
	s_sub_i32 s1, s2, s1
	s_cmp_lt_i32 s1, s14
	s_cselect_b32 s66, s0, 0
	s_ashr_i32 s0, s1, 31
	s_mul_i32 s0, s60, s0
	s_mul_hi_u32 s2, s60, s1
	s_add_i32 s0, s2, s0
	s_mul_i32 s2, s61, s1
	s_add_i32 s0, s0, s2
	s_mul_i32 s1, s60, s1
	s_add_u32 s2, s83, s1
	v_mov_b32_e32 v6, v4
	s_mov_b32 s65, 0
	s_addc_u32 s3, s84, s0
	v_mov_b32_e32 v5, v3
	s_branch .LBB75_17
.LBB75_16:                              ;   in Loop: Header=BB75_17 Depth=3
	s_add_i32 s65, s65, 1
	v_mov_b32_e32 v7, s49
	v_add_co_u32_e32 v5, vcc, s48, v5
	s_cmp_eq_u32 s65, s47
	v_addc_co_u32_e32 v6, vcc, v6, v7, vcc
	s_cbranch_scc1 .LBB75_7
.LBB75_17:                              ;   Parent Loop BB75_3 Depth=1
                                        ;     Parent Loop BB75_8 Depth=2
                                        ; =>    This Loop Header: Depth=3
                                        ;         Child Loop BB75_24 Depth 4
                                        ;           Child Loop BB75_31 Depth 5
	s_mul_i32 s0, s21, s65
	v_subrev_u32_e32 v7, s0, v24
	v_cmp_gt_i32_e64 s[0:1], 0, v7
	v_cmp_lt_i32_e32 vcc, -1, v7
	v_ashrrev_i32_e32 v8, 31, v7
	v_sub_u32_e32 v9, 0, v7
	s_and_saveexec_b64 s[4:5], vcc
	s_cbranch_execnz .LBB75_20
; %bb.18:                               ;   in Loop: Header=BB75_17 Depth=3
	s_or_b64 exec, exec, s[4:5]
	v_mov_b32_e32 v10, 1
	s_and_saveexec_b64 s[4:5], s[0:1]
	s_cbranch_execnz .LBB75_21
.LBB75_19:                              ;   in Loop: Header=BB75_17 Depth=3
	s_or_b64 exec, exec, s[4:5]
	s_andn2_b64 vcc, exec, s[24:25]
	s_cbranch_vccz .LBB75_22
	s_branch .LBB75_16
.LBB75_20:                              ;   in Loop: Header=BB75_17 Depth=3
	v_max_i32_e32 v10, v7, v9
	v_mul_hi_u32 v11, v10, v18
	s_andn2_b64 s[0:1], s[0:1], exec
	v_mul_lo_u32 v11, v11, s80
	v_sub_u32_e32 v10, v10, v11
	v_subrev_u32_e32 v11, s80, v10
	v_cmp_le_u32_e32 vcc, s80, v10
	v_cndmask_b32_e32 v10, v10, v11, vcc
	v_subrev_u32_e32 v11, s80, v10
	v_cmp_le_u32_e32 vcc, s80, v10
	v_cndmask_b32_e32 v10, v10, v11, vcc
	v_xor_b32_e32 v10, v10, v8
	v_sub_u32_e32 v10, v10, v8
	v_cmp_ne_u32_e32 vcc, 0, v10
	s_and_b64 s[86:87], vcc, exec
	s_or_b64 s[0:1], s[0:1], s[86:87]
	s_or_b64 exec, exec, s[4:5]
	v_mov_b32_e32 v10, 1
	s_and_saveexec_b64 s[4:5], s[0:1]
	s_cbranch_execz .LBB75_19
.LBB75_21:                              ;   in Loop: Header=BB75_17 Depth=3
	v_mov_b32_e32 v10, 0
	s_or_b64 exec, exec, s[4:5]
	s_andn2_b64 vcc, exec, s[24:25]
	s_cbranch_vccnz .LBB75_16
.LBB75_22:                              ;   in Loop: Header=BB75_17 Depth=3
	v_max_i32_e32 v7, v7, v9
	v_mul_hi_u32 v9, v7, v18
	v_xor_b32_e32 v8, s79, v8
	s_mov_b32 s67, 0
	v_mul_lo_u32 v11, v9, s80
	v_add_u32_e32 v12, 1, v9
	v_sub_u32_e32 v7, v7, v11
	v_cmp_le_u32_e32 vcc, s80, v7
	v_subrev_u32_e32 v11, s80, v7
	v_cndmask_b32_e32 v9, v9, v12, vcc
	v_cndmask_b32_e32 v7, v7, v11, vcc
	v_add_u32_e32 v11, 1, v9
	v_cmp_le_u32_e32 vcc, s80, v7
	v_cndmask_b32_e32 v7, v9, v11, vcc
	v_xor_b32_e32 v7, v7, v8
	v_sub_u32_e32 v9, v7, v8
	v_ashrrev_i32_e32 v7, 31, v9
	v_mul_lo_u32 v11, s54, v7
	v_mov_b32_e32 v8, s3
	v_mov_b32_e32 v7, s2
	v_mul_lo_u32 v12, s55, v9
	v_mad_u64_u32 v[7:8], s[0:1], s54, v9, v[7:8]
	v_cmp_gt_i32_e32 vcc, s15, v9
	v_cndmask_b32_e32 v9, 0, v10, vcc
	v_and_b32_e32 v26, s66, v9
	v_mov_b32_e32 v10, v6
	v_add3_u32 v8, v12, v8, v11
	v_mov_b32_e32 v9, v5
	s_branch .LBB75_24
.LBB75_23:                              ;   in Loop: Header=BB75_24 Depth=4
	s_add_i32 s67, s67, 1
	v_mov_b32_e32 v11, s51
	v_add_co_u32_e32 v9, vcc, s50, v9
	s_cmp_eq_u32 s67, s70
	v_addc_co_u32_e32 v10, vcc, v10, v11, vcc
	s_cbranch_scc1 .LBB75_16
.LBB75_24:                              ;   Parent Loop BB75_3 Depth=1
                                        ;     Parent Loop BB75_8 Depth=2
                                        ;       Parent Loop BB75_17 Depth=3
                                        ; =>      This Loop Header: Depth=4
                                        ;           Child Loop BB75_31 Depth 5
	s_mul_i32 s0, s22, s67
	v_subrev_u32_e32 v11, s0, v25
	v_sub_u32_e32 v13, 0, v11
	v_cmp_gt_i32_e64 s[0:1], 0, v11
	v_cmp_lt_i32_e32 vcc, -1, v11
	v_ashrrev_i32_e32 v12, 31, v11
	v_max_i32_e32 v11, v11, v13
	s_and_saveexec_b64 s[4:5], vcc
	s_cbranch_execnz .LBB75_27
; %bb.25:                               ;   in Loop: Header=BB75_24 Depth=4
	s_or_b64 exec, exec, s[4:5]
	v_mov_b32_e32 v13, 1
	s_and_saveexec_b64 s[4:5], s[0:1]
	s_cbranch_execnz .LBB75_28
.LBB75_26:                              ;   in Loop: Header=BB75_24 Depth=4
	s_or_b64 exec, exec, s[4:5]
	s_andn2_b64 vcc, exec, s[34:35]
	s_cbranch_vccz .LBB75_29
	s_branch .LBB75_23
.LBB75_27:                              ;   in Loop: Header=BB75_24 Depth=4
	v_mul_hi_u32 v13, v11, v19
	s_andn2_b64 s[0:1], s[0:1], exec
	v_mul_lo_u32 v13, v13, s82
	v_sub_u32_e32 v13, v11, v13
	v_subrev_u32_e32 v14, s82, v13
	v_cmp_le_u32_e32 vcc, s82, v13
	v_cndmask_b32_e32 v13, v13, v14, vcc
	v_subrev_u32_e32 v14, s82, v13
	v_cmp_le_u32_e32 vcc, s82, v13
	v_cndmask_b32_e32 v13, v13, v14, vcc
	v_xor_b32_e32 v13, v13, v12
	v_sub_u32_e32 v13, v13, v12
	v_cmp_ne_u32_e32 vcc, 0, v13
	s_and_b64 s[86:87], vcc, exec
	s_or_b64 s[0:1], s[0:1], s[86:87]
	s_or_b64 exec, exec, s[4:5]
	v_mov_b32_e32 v13, 1
	s_and_saveexec_b64 s[4:5], s[0:1]
	s_cbranch_execz .LBB75_26
.LBB75_28:                              ;   in Loop: Header=BB75_24 Depth=4
	v_mov_b32_e32 v13, 0
	s_or_b64 exec, exec, s[4:5]
	s_andn2_b64 vcc, exec, s[34:35]
	s_cbranch_vccnz .LBB75_23
.LBB75_29:                              ;   in Loop: Header=BB75_24 Depth=4
	v_mul_hi_u32 v14, v11, v19
	v_xor_b32_e32 v12, s81, v12
	s_mov_b32 s4, s12
	v_mul_lo_u32 v27, v14, s82
	v_add_u32_e32 v28, 1, v14
	v_sub_u32_e32 v11, v11, v27
	v_cmp_le_u32_e32 vcc, s82, v11
	v_subrev_u32_e32 v27, s82, v11
	v_cndmask_b32_e32 v14, v14, v28, vcc
	v_cndmask_b32_e32 v11, v11, v27, vcc
	v_add_u32_e32 v27, 1, v14
	v_cmp_le_u32_e32 vcc, s82, v11
	v_cndmask_b32_e32 v11, v14, v27, vcc
	v_xor_b32_e32 v11, v11, v12
	v_sub_u32_e32 v11, v11, v12
	v_ashrrev_i32_e32 v12, 31, v11
	v_cmp_gt_i32_e32 vcc, s16, v11
	v_mul_lo_u32 v14, s56, v12
	v_mul_lo_u32 v27, s57, v11
	v_mad_u64_u32 v[11:12], s[0:1], s56, v11, v[7:8]
	v_cndmask_b32_e32 v13, 0, v13, vcc
	v_and_b32_e32 v13, v26, v13
	v_and_b32_e32 v13, 1, v13
	v_cmp_eq_u32_e32 vcc, 1, v13
	v_add3_u32 v12, v27, v12, v14
	v_mov_b32_e32 v14, v10
	v_mov_b32_e32 v13, v9
	s_branch .LBB75_31
.LBB75_30:                              ;   in Loop: Header=BB75_31 Depth=5
	s_or_b64 exec, exec, s[0:1]
	v_mov_b32_e32 v27, s53
	v_add_co_u32_e64 v13, s[0:1], s52, v13
	v_addc_co_u32_e64 v14, s[0:1], v14, v27, s[0:1]
	s_add_i32 s4, s4, -1
	v_mov_b32_e32 v27, s59
	v_add_co_u32_e64 v11, s[0:1], s58, v11
	s_cmp_eq_u32 s4, 0
	v_addc_co_u32_e64 v12, s[0:1], v12, v27, s[0:1]
	s_cbranch_scc1 .LBB75_23
.LBB75_31:                              ;   Parent Loop BB75_3 Depth=1
                                        ;     Parent Loop BB75_8 Depth=2
                                        ;       Parent Loop BB75_17 Depth=3
                                        ;         Parent Loop BB75_24 Depth=4
                                        ; =>        This Inner Loop Header: Depth=5
	s_and_saveexec_b64 s[0:1], vcc
	s_cbranch_execz .LBB75_30
; %bb.32:                               ;   in Loop: Header=BB75_31 Depth=5
	global_load_dword v27, v[11:12], off
	global_load_dword v29, v[13:14], off
	s_waitcnt vmcnt(1)
	v_cvt_f64_f32_e32 v[27:28], v27
	s_waitcnt vmcnt(0)
	v_cvt_f64_f32_e32 v[29:30], v29
	v_fma_f64 v[1:2], v[27:28], v[29:30], v[1:2]
	s_branch .LBB75_30
.LBB75_33:                              ;   in Loop: Header=BB75_3 Depth=1
	v_ashrrev_i32_e32 v3, 31, v23
	v_mul_lo_u32 v9, s43, v23
	v_mul_lo_u32 v10, s42, v3
	v_mad_u64_u32 v[3:4], s[0:1], s42, v23, 0
	v_ashrrev_i32_e32 v5, 31, v22
	v_mul_lo_u32 v11, s41, v22
	v_mul_lo_u32 v12, s40, v5
	v_mad_u64_u32 v[5:6], s[0:1], s40, v22, 0
	v_add3_u32 v4, v4, v10, v9
	v_lshlrev_b64 v[3:4], 2, v[3:4]
	v_mul_lo_u32 v13, v21, s36
	v_mul_lo_u32 v14, v20, s37
	v_mad_u64_u32 v[7:8], s[0:1], v20, s36, 0
	v_add3_u32 v6, v6, v12, v11
	v_mov_b32_e32 v9, s69
	v_add_co_u32_e32 v10, vcc, s68, v3
	v_addc_co_u32_e32 v9, vcc, v9, v4, vcc
	v_lshlrev_b64 v[3:4], 2, v[5:6]
	v_add3_u32 v8, v8, v14, v13
	v_add_co_u32_e32 v5, vcc, v10, v3
	v_addc_co_u32_e32 v6, vcc, v9, v4, vcc
	v_lshlrev_b64 v[3:4], 2, v[7:8]
	s_andn2_b64 vcc, exec, s[38:39]
	v_add_co_u32_e64 v3, s[0:1], v5, v3
	v_addc_co_u32_e64 v4, s[0:1], v6, v4, s[0:1]
	s_cbranch_vccnz .LBB75_2
; %bb.34:                               ;   in Loop: Header=BB75_3 Depth=1
	global_load_dword v5, v[3:4], off
	s_waitcnt vmcnt(0)
	v_cvt_f64_f32_e32 v[5:6], v5
	v_mul_f64 v[5:6], s[30:31], v[5:6]
	v_fma_f64 v[1:2], s[28:29], v[1:2], v[5:6]
	s_branch .LBB75_2
.LBB75_35:
	s_endpgm
	.section	.rodata,"a",@progbits
	.p2align	6, 0x0
	.amdhsa_kernel naive_conv_ab_nonpacked_bwd_ndhwc_float_double_float
		.amdhsa_group_segment_fixed_size 0
		.amdhsa_private_segment_fixed_size 0
		.amdhsa_kernarg_size 528
		.amdhsa_user_sgpr_count 6
		.amdhsa_user_sgpr_private_segment_buffer 1
		.amdhsa_user_sgpr_dispatch_ptr 0
		.amdhsa_user_sgpr_queue_ptr 0
		.amdhsa_user_sgpr_kernarg_segment_ptr 1
		.amdhsa_user_sgpr_dispatch_id 0
		.amdhsa_user_sgpr_flat_scratch_init 0
		.amdhsa_user_sgpr_private_segment_size 0
		.amdhsa_uses_dynamic_stack 0
		.amdhsa_system_sgpr_private_segment_wavefront_offset 0
		.amdhsa_system_sgpr_workgroup_id_x 1
		.amdhsa_system_sgpr_workgroup_id_y 0
		.amdhsa_system_sgpr_workgroup_id_z 0
		.amdhsa_system_sgpr_workgroup_info 0
		.amdhsa_system_vgpr_workitem_id 0
		.amdhsa_next_free_vgpr 31
		.amdhsa_next_free_sgpr 92
		.amdhsa_reserve_vcc 1
		.amdhsa_reserve_flat_scratch 0
		.amdhsa_float_round_mode_32 0
		.amdhsa_float_round_mode_16_64 0
		.amdhsa_float_denorm_mode_32 3
		.amdhsa_float_denorm_mode_16_64 3
		.amdhsa_dx10_clamp 1
		.amdhsa_ieee_mode 1
		.amdhsa_fp16_overflow 0
		.amdhsa_exception_fp_ieee_invalid_op 0
		.amdhsa_exception_fp_denorm_src 0
		.amdhsa_exception_fp_ieee_div_zero 0
		.amdhsa_exception_fp_ieee_overflow 0
		.amdhsa_exception_fp_ieee_underflow 0
		.amdhsa_exception_fp_ieee_inexact 0
		.amdhsa_exception_int_div_zero 0
	.end_amdhsa_kernel
	.text
.Lfunc_end75:
	.size	naive_conv_ab_nonpacked_bwd_ndhwc_float_double_float, .Lfunc_end75-naive_conv_ab_nonpacked_bwd_ndhwc_float_double_float
                                        ; -- End function
	.set naive_conv_ab_nonpacked_bwd_ndhwc_float_double_float.num_vgpr, 31
	.set naive_conv_ab_nonpacked_bwd_ndhwc_float_double_float.num_agpr, 0
	.set naive_conv_ab_nonpacked_bwd_ndhwc_float_double_float.numbered_sgpr, 92
	.set naive_conv_ab_nonpacked_bwd_ndhwc_float_double_float.num_named_barrier, 0
	.set naive_conv_ab_nonpacked_bwd_ndhwc_float_double_float.private_seg_size, 0
	.set naive_conv_ab_nonpacked_bwd_ndhwc_float_double_float.uses_vcc, 1
	.set naive_conv_ab_nonpacked_bwd_ndhwc_float_double_float.uses_flat_scratch, 0
	.set naive_conv_ab_nonpacked_bwd_ndhwc_float_double_float.has_dyn_sized_stack, 0
	.set naive_conv_ab_nonpacked_bwd_ndhwc_float_double_float.has_recursion, 0
	.set naive_conv_ab_nonpacked_bwd_ndhwc_float_double_float.has_indirect_call, 0
	.section	.AMDGPU.csdata,"",@progbits
; Kernel info:
; codeLenInByte = 2720
; TotalNumSgprs: 96
; NumVgprs: 31
; ScratchSize: 0
; MemoryBound: 0
; FloatMode: 240
; IeeeMode: 1
; LDSByteSize: 0 bytes/workgroup (compile time only)
; SGPRBlocks: 11
; VGPRBlocks: 7
; NumSGPRsForWavesPerEU: 96
; NumVGPRsForWavesPerEU: 31
; Occupancy: 8
; WaveLimiterHint : 1
; COMPUTE_PGM_RSRC2:SCRATCH_EN: 0
; COMPUTE_PGM_RSRC2:USER_SGPR: 6
; COMPUTE_PGM_RSRC2:TRAP_HANDLER: 0
; COMPUTE_PGM_RSRC2:TGID_X_EN: 1
; COMPUTE_PGM_RSRC2:TGID_Y_EN: 0
; COMPUTE_PGM_RSRC2:TGID_Z_EN: 0
; COMPUTE_PGM_RSRC2:TIDIG_COMP_CNT: 0
	.text
	.protected	naive_conv_ab_packed_bwd_ndhwc_half_double_half ; -- Begin function naive_conv_ab_packed_bwd_ndhwc_half_double_half
	.globl	naive_conv_ab_packed_bwd_ndhwc_half_double_half
	.p2align	8
	.type	naive_conv_ab_packed_bwd_ndhwc_half_double_half,@function
naive_conv_ab_packed_bwd_ndhwc_half_double_half: ; @naive_conv_ab_packed_bwd_ndhwc_half_double_half
; %bb.0:
	s_load_dwordx16 s[8:23], s[4:5], 0xb8
	s_abs_i32 s1, s6
	s_waitcnt lgkmcnt(0)
	s_abs_i32 s0, s8
	v_cvt_f32_u32_e32 v1, s0
	s_sub_i32 s2, 0, s0
	s_mul_i32 s7, s11, s8
	v_rcp_iflag_f32_e32 v1, v1
	v_mul_f32_e32 v1, 0x4f7ffffe, v1
	v_cvt_u32_f32_e32 v1, v1
	v_readfirstlane_b32 s3, v1
	s_mul_i32 s2, s2, s3
	s_mul_hi_u32 s2, s3, s2
	s_add_i32 s3, s3, s2
	s_mul_hi_u32 s2, s1, s3
	s_mul_i32 s3, s2, s0
	s_sub_i32 s3, s1, s3
	s_add_i32 s24, s2, 1
	s_sub_i32 s25, s3, s0
	s_cmp_ge_u32 s3, s0
	s_cselect_b32 s2, s24, s2
	s_cselect_b32 s3, s25, s3
	s_add_i32 s24, s2, 1
	s_cmp_ge_u32 s3, s0
	s_cselect_b32 s34, s24, s2
	s_abs_i32 s3, s11
	s_abs_i32 s2, s7
	v_cvt_f32_u32_e32 v1, s3
	v_cvt_f32_u32_e32 v2, s2
	s_mul_i32 s0, s13, s10
	s_mul_i32 s11, s0, s9
	v_rcp_iflag_f32_e32 v1, v1
	v_rcp_iflag_f32_e32 v2, v2
	v_cmp_gt_i32_e32 vcc, s11, v0
	v_mul_f32_e32 v1, 0x4f7ffffe, v1
	v_mul_f32_e32 v2, 0x4f7ffffe, v2
	v_cvt_u32_f32_e32 v1, v1
	v_cvt_u32_f32_e32 v2, v2
	v_readfirstlane_b32 s35, v1
	v_readfirstlane_b32 s33, v2
	s_and_saveexec_b64 s[24:25], vcc
	s_cbranch_execz .LBB76_37
; %bb.1:
	s_ashr_i32 s40, s6, 31
	s_ashr_i32 s36, s8, 31
	s_xor_b32 s36, s40, s36
	s_xor_b32 s34, s34, s36
	s_sub_i32 s41, s34, s36
	s_sub_i32 s34, 0, s3
	s_mul_i32 s34, s34, s35
	s_mul_hi_u32 s34, s35, s34
	s_abs_i32 s43, s41
	s_add_i32 s35, s35, s34
	s_mul_hi_u32 s44, s43, s35
	s_sub_i32 s34, 0, s2
	s_ashr_i32 s42, s41, 31
	s_mul_i32 s34, s34, s33
	s_mul_i32 s41, s41, s8
	;; [unrolled: 1-line block ×3, first 2 shown]
	s_mul_hi_u32 s36, s33, s34
	s_sub_i32 s6, s6, s41
	s_sub_i32 s41, s43, s44
	s_ashr_i32 s7, s7, 31
	s_add_i32 s33, s33, s36
	s_sub_i32 s43, s41, s3
	s_cmp_ge_u32 s41, s3
	s_cselect_b32 s41, s43, s41
	s_sub_i32 s43, s41, s3
	s_cmp_ge_u32 s41, s3
	s_cselect_b32 s3, s43, s41
	s_mul_hi_u32 s45, s1, s33
	s_xor_b32 s3, s3, s42
	s_sub_i32 s47, s3, s42
	s_xor_b32 s3, s40, s7
	s_mul_i32 s7, s45, s2
	s_sub_i32 s1, s1, s7
	s_add_i32 s7, s45, 1
	s_sub_i32 s40, s1, s2
	s_load_dwordx2 s[34:35], s[4:5], 0x108
	s_cmp_ge_u32 s1, s2
	s_cselect_b32 s7, s7, s45
	s_cselect_b32 s1, s40, s1
	s_add_i32 s40, s7, 1
	s_cmp_ge_u32 s1, s2
	s_cselect_b32 s1, s40, s7
	s_waitcnt lgkmcnt(0)
	s_mul_i32 s33, s35, s12
	s_mul_i32 s35, s35, s13
	s_xor_b32 s1, s1, s3
	s_sub_i32 s1, s1, s3
	s_ashr_i32 s48, s47, 31
	s_mul_i32 s3, s47, s8
	s_ashr_i32 s56, s35, 31
	s_ashr_i32 s7, s6, 31
	s_mul_hi_i32 s2, s47, s8
	s_add_u32 s8, s3, s6
	s_addc_u32 s2, s2, s7
	s_mul_i32 s7, s10, s9
	s_mul_hi_i32 s3, s10, s9
	s_mul_hi_u32 s9, s7, s35
	s_mul_i32 s40, s7, s56
	s_load_dwordx8 s[24:31], s[4:5], 0x0
	s_add_i32 s9, s9, s40
	s_mul_i32 s3, s3, s35
	s_mul_i32 s7, s7, s35
	s_add_i32 s3, s9, s3
	s_mul_i32 s2, s7, s2
	s_mul_hi_u32 s9, s7, s8
	s_add_i32 s2, s9, s2
	s_mul_i32 s3, s3, s8
	s_add_i32 s3, s2, s3
	s_mul_i32 s2, s7, s8
	s_load_dwordx4 s[36:39], s[4:5], 0xf8
	s_load_dword s46, s[4:5], 0x11c
	s_ashr_i32 s7, s13, 31
	s_lshl_b64 s[2:3], s[2:3], 1
	s_mul_hi_i32 s9, s1, s13
	s_mul_i32 s8, s1, s13
	s_waitcnt lgkmcnt(0)
	s_add_u32 s24, s24, s2
	s_addc_u32 s25, s25, s3
	s_lshl_b64 s[2:3], s[8:9], 1
	s_add_u32 s57, s24, s2
	s_addc_u32 s58, s25, s3
	s_ashr_i32 s49, s38, 31
	s_ashr_i32 s50, s14, 31
	;; [unrolled: 1-line block ×4, first 2 shown]
	s_cmp_lt_i32 s38, 1
	s_cselect_b64 s[8:9], -1, 0
	s_add_i32 s23, s6, s23
	s_cmp_gt_i32 s39, 0
	s_cselect_b64 s[24:25], -1, 0
	s_cmp_gt_i32 s34, 0
	s_cselect_b64 s[40:41], -1, 0
	;; [unrolled: 2-line block ×3, first 2 shown]
	s_abs_i32 s61, s17
	v_cvt_f32_u32_e32 v1, s61
	s_load_dwordx2 s[2:3], s[4:5], 0x20
	v_cmp_neq_f64_e64 s[4:5], s[28:29], 1.0
	v_cmp_neq_f64_e64 s[44:45], s[30:31], 0
	v_rcp_iflag_f32_e32 v1, v1
	s_abs_i32 s66, s13
	s_abs_i32 s65, s0
	;; [unrolled: 1-line block ×3, first 2 shown]
	v_mul_f32_e32 v1, 0x4f7ffffe, v1
	v_cvt_u32_f32_e32 v1, v1
	s_abs_i32 s70, s18
	s_or_b64 s[44:45], s[4:5], s[44:45]
	s_sub_i32 s4, 0, s61
	v_readfirstlane_b32 s5, v1
	v_cvt_f32_u32_e32 v1, s66
	s_mul_i32 s4, s4, s5
	s_mul_hi_u32 s4, s5, s4
	s_abs_i32 s72, s19
	s_add_i32 s62, s5, s4
	s_mul_hi_i32 s5, s12, s1
	s_mul_i32 s4, s12, s1
	v_rcp_iflag_f32_e32 v1, v1
	v_cvt_f32_u32_e32 v2, s67
	v_cvt_f32_u32_e32 v3, s65
	;; [unrolled: 1-line block ×4, first 2 shown]
	s_and_b32 s63, s46, 0xffff
	s_ashr_i32 s64, s0, 31
	s_sub_i32 s6, 0, s66
	s_sub_i32 s46, 0, s67
	;; [unrolled: 1-line block ×3, first 2 shown]
	s_ashr_i32 s68, s17, 31
	s_ashr_i32 s69, s18, 31
	s_sub_i32 s17, 0, s70
	s_ashr_i32 s71, s19, 31
	s_sub_i32 s53, 0, s72
	s_lshl_b64 s[0:1], s[4:5], 1
	s_waitcnt lgkmcnt(0)
	s_add_u32 s18, s2, s0
	s_mul_i32 s0, s16, s15
	s_addc_u32 s19, s3, s1
	s_mul_i32 s1, s0, s50
	s_mul_hi_u32 s2, s0, s14
	s_add_i32 s1, s2, s1
	s_mul_hi_i32 s2, s16, s15
	v_mul_f32_e32 v1, 0x4f7ffffe, v1
	v_rcp_iflag_f32_e32 v2, v2
	v_rcp_iflag_f32_e32 v3, v3
	;; [unrolled: 1-line block ×4, first 2 shown]
	s_mul_i32 s2, s2, s14
	s_mul_i32 s0, s0, s14
	v_cvt_u32_f32_e32 v1, v1
	s_add_i32 s1, s1, s2
	s_mul_i32 s2, s0, s48
	s_mul_hi_u32 s3, s0, s47
	s_add_i32 s2, s3, s2
	s_mul_i32 s1, s1, s47
	s_add_i32 s1, s2, s1
	s_mul_i32 s2, s34, s39
	v_mul_f32_e32 v2, 0x4f7ffffe, v2
	v_mul_f32_e32 v3, 0x4f7ffffe, v3
	;; [unrolled: 1-line block ×4, first 2 shown]
	s_mul_i32 s0, s0, s47
	s_mul_i32 s3, s2, s7
	s_mul_hi_u32 s47, s2, s13
	v_mul_lo_u32 v4, s6, v1
	v_cvt_u32_f32_e32 v2, v2
	v_cvt_u32_f32_e32 v3, v3
	;; [unrolled: 1-line block ×4, first 2 shown]
	s_add_i32 s3, s47, s3
	s_mul_hi_i32 s47, s34, s39
	s_mul_i32 s47, s47, s13
	s_mul_i32 s2, s2, s13
	s_add_i32 s3, s3, s47
	s_mul_i32 s47, s2, s49
	s_mul_hi_u32 s48, s2, s38
	s_add_i32 s47, s48, s47
	s_mul_i32 s48, s3, s38
	v_mul_lo_u32 v7, s46, v2
	v_mul_lo_u32 v8, s52, v3
	;; [unrolled: 1-line block ×4, first 2 shown]
	v_mul_hi_u32 v4, v1, v4
	s_add_i32 s51, s47, s48
	s_mul_i32 s50, s2, s38
	s_mul_i32 s47, s4, s51
	s_mul_hi_u32 s48, s4, s50
	s_add_i32 s47, s48, s47
	s_mul_i32 s5, s5, s50
	s_add_i32 s5, s47, s5
	s_mul_i32 s4, s4, s50
	v_add_u32_e32 v18, v1, v4
	v_mul_hi_u32 v1, v2, v7
	v_mul_hi_u32 v4, v3, v8
	;; [unrolled: 1-line block ×4, first 2 shown]
	s_lshl_b64 s[46:47], s[0:1], 1
	s_lshl_b64 s[0:1], s[4:5], 1
	s_add_u32 s73, s26, s0
	s_addc_u32 s74, s27, s1
	s_mov_b32 s6, s13
	s_mul_hi_i32 s1, s34, s13
	s_mul_i32 s0, s34, s13
	v_add_u32_e32 v19, v2, v1
	v_add_u32_e32 v20, v3, v4
	;; [unrolled: 1-line block ×4, first 2 shown]
	s_lshl_b64 s[26:27], s[2:3], 1
	s_lshl_b64 s[48:49], s[0:1], 1
	;; [unrolled: 1-line block ×3, first 2 shown]
	v_mov_b32_e32 v23, 0x7c00
	v_mov_b32_e32 v24, 0x7e00
	s_mov_b32 s13, s39
	s_mov_b32 s39, s16
	s_movk_i32 s75, 0x1ff
	s_movk_i32 s76, 0xffe
	;; [unrolled: 1-line block ×3, first 2 shown]
	s_mov_b32 s78, 0x8000
	s_mov_b64 s[16:17], 0
	s_lshl_b64 s[52:53], s[6:7], 1
	s_branch .LBB76_3
.LBB76_2:                               ;   in Loop: Header=BB76_3 Depth=1
	v_add_u32_e32 v0, s63, v0
	v_cmp_le_i32_e32 vcc, s11, v0
	s_or_b64 s[16:17], vcc, s[16:17]
	s_andn2_b64 exec, exec, s[16:17]
	s_cbranch_execz .LBB76_37
.LBB76_3:                               ; =>This Loop Header: Depth=1
                                        ;     Child Loop BB76_8 Depth 2
                                        ;       Child Loop BB76_17 Depth 3
                                        ;         Child Loop BB76_24 Depth 4
                                        ;           Child Loop BB76_31 Depth 5
	v_sub_u32_e32 v1, 0, v0
	v_max_i32_e32 v4, v0, v1
	v_mul_hi_u32 v2, v4, v18
	v_ashrrev_i32_e32 v1, 31, v0
	v_xor_b32_e32 v5, s7, v1
	s_mov_b64 s[54:55], -1
	v_mul_lo_u32 v3, v2, s66
	v_add_u32_e32 v6, 1, v2
	v_sub_u32_e32 v3, v4, v3
	v_cmp_le_u32_e32 vcc, s66, v3
	v_cndmask_b32_e32 v2, v2, v6, vcc
	v_subrev_u32_e32 v6, s66, v3
	v_cndmask_b32_e32 v3, v3, v6, vcc
	v_add_u32_e32 v6, 1, v2
	v_cmp_le_u32_e32 vcc, s66, v3
	v_cndmask_b32_e32 v2, v2, v6, vcc
	v_xor_b32_e32 v2, v2, v5
	v_sub_u32_e32 v2, v2, v5
	v_sub_u32_e32 v3, 0, v2
	v_max_i32_e32 v5, v2, v3
	v_mul_hi_u32 v3, v5, v19
	v_mul_hi_u32 v6, v4, v20
	v_mul_lo_u32 v7, v2, s6
	v_mul_lo_u32 v8, v3, s67
	v_mul_lo_u32 v9, v6, s65
	v_sub_u32_e32 v3, v0, v7
	v_sub_u32_e32 v5, v5, v8
	v_subrev_u32_e32 v7, s67, v5
	v_cmp_le_u32_e32 vcc, s67, v5
	v_sub_u32_e32 v4, v4, v9
	v_cndmask_b32_e32 v5, v5, v7, vcc
	v_subrev_u32_e32 v7, s65, v4
	v_cmp_le_u32_e64 s[0:1], s65, v4
	v_cndmask_b32_e64 v4, v4, v7, s[0:1]
	v_cmp_le_u32_e64 s[4:5], s67, v5
	v_cmp_le_u32_e64 s[2:3], s65, v4
	s_andn2_b64 vcc, exec, s[8:9]
	s_cbranch_vccnz .LBB76_5
; %bb.4:                                ;   in Loop: Header=BB76_3 Depth=1
	v_ashrrev_i32_e32 v4, 31, v3
	s_mov_b64 s[54:55], 0
.LBB76_5:                               ;   in Loop: Header=BB76_3 Depth=1
	v_subrev_u32_e32 v7, s67, v5
	v_ashrrev_i32_e32 v2, 31, v2
	v_cndmask_b32_e64 v5, v5, v7, s[4:5]
	v_xor_b32_e32 v7, s64, v1
	v_add_u32_e32 v1, 1, v6
	v_xor_b32_e32 v5, v5, v2
	v_cndmask_b32_e64 v1, v6, v1, s[0:1]
	v_sub_u32_e32 v5, v5, v2
	v_add_u32_e32 v2, 1, v1
	v_cndmask_b32_e64 v1, v1, v2, s[2:3]
	v_xor_b32_e32 v6, v1, v7
	v_mov_b32_e32 v1, 0
	v_mov_b32_e32 v2, 0
	s_andn2_b64 vcc, exec, s[54:55]
	v_sub_u32_e32 v25, v6, v7
	s_cbranch_vccnz .LBB76_33
; %bb.6:                                ;   in Loop: Header=BB76_3 Depth=1
	v_ashrrev_i32_e32 v4, 31, v3
	v_lshlrev_b64 v[1:2], 1, v[3:4]
	v_mov_b32_e32 v7, s74
	v_add_co_u32_e32 v6, vcc, s73, v1
	v_addc_co_u32_e32 v7, vcc, v7, v2, vcc
	v_mov_b32_e32 v1, 0
	v_add_u32_e32 v26, s36, v25
	v_add_u32_e32 v27, s37, v5
	v_mov_b32_e32 v2, 0
	s_mov_b32 s4, 0
	s_branch .LBB76_8
.LBB76_7:                               ;   in Loop: Header=BB76_8 Depth=2
	s_add_i32 s4, s4, 1
	v_mov_b32_e32 v8, s27
	v_add_co_u32_e32 v6, vcc, s26, v6
	s_cmp_eq_u32 s4, s38
	v_addc_co_u32_e32 v7, vcc, v7, v8, vcc
	s_cbranch_scc1 .LBB76_33
.LBB76_8:                               ;   Parent Loop BB76_3 Depth=1
                                        ; =>  This Loop Header: Depth=2
                                        ;       Child Loop BB76_17 Depth 3
                                        ;         Child Loop BB76_24 Depth 4
                                        ;           Child Loop BB76_31 Depth 5
	s_mul_i32 s0, s20, s4
	s_sub_i32 s80, s23, s0
	s_cmp_gt_i32 s80, -1
	s_cbranch_scc0 .LBB76_10
; %bb.9:                                ;   in Loop: Header=BB76_8 Depth=2
	s_abs_i32 s0, s80
	s_mul_hi_u32 s54, s0, s62
	s_mul_i32 s1, s54, s61
	s_sub_i32 s55, s0, s1
	s_ashr_i32 s5, s80, 31
	s_sub_i32 s79, s55, s61
	s_cmp_ge_u32 s55, s61
	s_cselect_b32 s0, s79, s55
	s_sub_i32 s1, s0, s61
	s_cmp_ge_u32 s0, s61
	s_cselect_b32 s0, s1, s0
	s_xor_b32 s0, s0, s5
	s_sub_i32 s0, s0, s5
	s_cmp_lg_u32 s0, 0
	s_cselect_b64 s[0:1], -1, 0
	s_cbranch_execz .LBB76_11
	s_branch .LBB76_12
.LBB76_10:                              ;   in Loop: Header=BB76_8 Depth=2
	s_mov_b64 s[0:1], 0
                                        ; implicit-def: $sgpr5
                                        ; implicit-def: $sgpr54
                                        ; implicit-def: $sgpr55
                                        ; implicit-def: $sgpr79
.LBB76_11:                              ;   in Loop: Header=BB76_8 Depth=2
	s_abs_i32 s0, s80
	s_mul_hi_u32 s54, s0, s62
	s_mul_i32 s1, s54, s61
	s_sub_i32 s55, s0, s1
	s_ashr_i32 s5, s80, 31
	s_sub_i32 s79, s55, s61
	s_mov_b64 s[0:1], -1
.LBB76_12:                              ;   in Loop: Header=BB76_8 Depth=2
	s_andn2_b64 vcc, exec, s[0:1]
	s_mov_b32 s0, 1
	s_cbranch_vccz .LBB76_14
; %bb.13:                               ;   in Loop: Header=BB76_8 Depth=2
	s_andn2_b64 vcc, exec, s[24:25]
	s_cbranch_vccz .LBB76_15
	s_branch .LBB76_7
.LBB76_14:                              ;   in Loop: Header=BB76_8 Depth=2
	s_mov_b32 s0, 0
	s_andn2_b64 vcc, exec, s[24:25]
	s_cbranch_vccnz .LBB76_7
.LBB76_15:                              ;   in Loop: Header=BB76_8 Depth=2
	s_xor_b32 s1, s5, s68
	s_add_i32 s2, s54, 1
	s_cmp_ge_u32 s55, s61
	s_cselect_b32 s2, s2, s54
	s_cselect_b32 s3, s79, s55
	s_add_i32 s5, s2, 1
	s_cmp_ge_u32 s3, s61
	s_cselect_b32 s2, s5, s2
	s_xor_b32 s2, s2, s1
	s_sub_i32 s1, s2, s1
	s_cmp_lt_i32 s1, s14
	v_mov_b32_e32 v9, v7
	s_mov_b32 s5, 0
	s_cselect_b32 s54, s0, 0
	s_mul_hi_i32 s55, s1, s15
	s_mul_i32 s79, s1, s15
	v_mov_b32_e32 v8, v6
	s_branch .LBB76_17
.LBB76_16:                              ;   in Loop: Header=BB76_17 Depth=3
	s_add_i32 s5, s5, 1
	v_mov_b32_e32 v10, s49
	v_add_co_u32_e32 v8, vcc, s48, v8
	s_cmp_eq_u32 s5, s13
	v_addc_co_u32_e32 v9, vcc, v9, v10, vcc
	s_cbranch_scc1 .LBB76_7
.LBB76_17:                              ;   Parent Loop BB76_3 Depth=1
                                        ;     Parent Loop BB76_8 Depth=2
                                        ; =>    This Loop Header: Depth=3
                                        ;         Child Loop BB76_24 Depth 4
                                        ;           Child Loop BB76_31 Depth 5
	s_mul_i32 s0, s21, s5
	v_subrev_u32_e32 v10, s0, v26
	v_cmp_gt_i32_e64 s[0:1], 0, v10
	v_cmp_lt_i32_e32 vcc, -1, v10
	v_ashrrev_i32_e32 v11, 31, v10
	v_sub_u32_e32 v12, 0, v10
	s_and_saveexec_b64 s[2:3], vcc
	s_cbranch_execnz .LBB76_20
; %bb.18:                               ;   in Loop: Header=BB76_17 Depth=3
	s_or_b64 exec, exec, s[2:3]
	v_mov_b32_e32 v13, 1
	s_and_saveexec_b64 s[2:3], s[0:1]
	s_cbranch_execnz .LBB76_21
.LBB76_19:                              ;   in Loop: Header=BB76_17 Depth=3
	s_or_b64 exec, exec, s[2:3]
	s_andn2_b64 vcc, exec, s[40:41]
	s_cbranch_vccz .LBB76_22
	s_branch .LBB76_16
.LBB76_20:                              ;   in Loop: Header=BB76_17 Depth=3
	v_max_i32_e32 v13, v10, v12
	v_mul_hi_u32 v14, v13, v21
	s_andn2_b64 s[0:1], s[0:1], exec
	v_mul_lo_u32 v14, v14, s70
	v_sub_u32_e32 v13, v13, v14
	v_subrev_u32_e32 v14, s70, v13
	v_cmp_le_u32_e32 vcc, s70, v13
	v_cndmask_b32_e32 v13, v13, v14, vcc
	v_subrev_u32_e32 v14, s70, v13
	v_cmp_le_u32_e32 vcc, s70, v13
	v_cndmask_b32_e32 v13, v13, v14, vcc
	v_xor_b32_e32 v13, v13, v11
	v_sub_u32_e32 v13, v13, v11
	v_cmp_ne_u32_e32 vcc, 0, v13
	s_and_b64 s[80:81], vcc, exec
	s_or_b64 s[0:1], s[0:1], s[80:81]
	s_or_b64 exec, exec, s[2:3]
	v_mov_b32_e32 v13, 1
	s_and_saveexec_b64 s[2:3], s[0:1]
	s_cbranch_execz .LBB76_19
.LBB76_21:                              ;   in Loop: Header=BB76_17 Depth=3
	v_mov_b32_e32 v13, 0
	s_or_b64 exec, exec, s[2:3]
	s_andn2_b64 vcc, exec, s[40:41]
	s_cbranch_vccnz .LBB76_16
.LBB76_22:                              ;   in Loop: Header=BB76_17 Depth=3
	v_max_i32_e32 v10, v10, v12
	v_mul_hi_u32 v12, v10, v21
	v_xor_b32_e32 v11, s69, v11
	s_mov_b32 s80, 0
	v_mul_lo_u32 v14, v12, s70
	v_add_u32_e32 v15, 1, v12
	v_sub_u32_e32 v10, v10, v14
	v_cmp_le_u32_e32 vcc, s70, v10
	v_subrev_u32_e32 v14, s70, v10
	v_cndmask_b32_e32 v12, v12, v15, vcc
	v_cndmask_b32_e32 v10, v10, v14, vcc
	v_add_u32_e32 v14, 1, v12
	v_cmp_le_u32_e32 vcc, s70, v10
	v_cndmask_b32_e32 v10, v12, v14, vcc
	v_xor_b32_e32 v10, v10, v11
	v_sub_u32_e32 v12, v10, v11
	v_ashrrev_i32_e32 v10, 31, v12
	v_mov_b32_e32 v11, s55
	v_add_co_u32_e32 v14, vcc, s79, v12
	v_addc_co_u32_e32 v10, vcc, v11, v10, vcc
	v_mul_lo_u32 v15, v10, s39
	v_mul_lo_u32 v16, v14, s59
	v_mad_u64_u32 v[10:11], s[0:1], v14, s39, 0
	v_cmp_gt_i32_e32 vcc, s15, v12
	v_cndmask_b32_e32 v12, 0, v13, vcc
	v_and_b32_e32 v28, s54, v12
	v_mov_b32_e32 v13, v9
	v_add3_u32 v11, v11, v16, v15
	v_mov_b32_e32 v12, v8
	s_branch .LBB76_24
.LBB76_23:                              ;   in Loop: Header=BB76_24 Depth=4
	s_add_i32 s80, s80, 1
	v_mov_b32_e32 v14, s53
	v_add_co_u32_e32 v12, vcc, s52, v12
	s_cmp_eq_u32 s80, s34
	v_addc_co_u32_e32 v13, vcc, v13, v14, vcc
	s_cbranch_scc1 .LBB76_16
.LBB76_24:                              ;   Parent Loop BB76_3 Depth=1
                                        ;     Parent Loop BB76_8 Depth=2
                                        ;       Parent Loop BB76_17 Depth=3
                                        ; =>      This Loop Header: Depth=4
                                        ;           Child Loop BB76_31 Depth 5
	s_mul_i32 s0, s22, s80
	v_subrev_u32_e32 v14, s0, v27
	v_sub_u32_e32 v16, 0, v14
	v_cmp_gt_i32_e64 s[0:1], 0, v14
	v_cmp_lt_i32_e32 vcc, -1, v14
	v_ashrrev_i32_e32 v15, 31, v14
	v_max_i32_e32 v14, v14, v16
	s_and_saveexec_b64 s[2:3], vcc
	s_cbranch_execnz .LBB76_27
; %bb.25:                               ;   in Loop: Header=BB76_24 Depth=4
	s_or_b64 exec, exec, s[2:3]
	v_mov_b32_e32 v16, 1
	s_and_saveexec_b64 s[2:3], s[0:1]
	s_cbranch_execnz .LBB76_28
.LBB76_26:                              ;   in Loop: Header=BB76_24 Depth=4
	s_or_b64 exec, exec, s[2:3]
	s_andn2_b64 vcc, exec, s[42:43]
	s_cbranch_vccz .LBB76_29
	s_branch .LBB76_23
.LBB76_27:                              ;   in Loop: Header=BB76_24 Depth=4
	v_mul_hi_u32 v16, v14, v22
	s_andn2_b64 s[0:1], s[0:1], exec
	v_mul_lo_u32 v16, v16, s72
	v_sub_u32_e32 v16, v14, v16
	v_subrev_u32_e32 v17, s72, v16
	v_cmp_le_u32_e32 vcc, s72, v16
	v_cndmask_b32_e32 v16, v16, v17, vcc
	v_subrev_u32_e32 v17, s72, v16
	v_cmp_le_u32_e32 vcc, s72, v16
	v_cndmask_b32_e32 v16, v16, v17, vcc
	v_xor_b32_e32 v16, v16, v15
	v_sub_u32_e32 v16, v16, v15
	v_cmp_ne_u32_e32 vcc, 0, v16
	s_and_b64 s[82:83], vcc, exec
	s_or_b64 s[0:1], s[0:1], s[82:83]
	s_or_b64 exec, exec, s[2:3]
	v_mov_b32_e32 v16, 1
	s_and_saveexec_b64 s[2:3], s[0:1]
	s_cbranch_execz .LBB76_26
.LBB76_28:                              ;   in Loop: Header=BB76_24 Depth=4
	v_mov_b32_e32 v16, 0
	s_or_b64 exec, exec, s[2:3]
	s_andn2_b64 vcc, exec, s[42:43]
	s_cbranch_vccnz .LBB76_23
.LBB76_29:                              ;   in Loop: Header=BB76_24 Depth=4
	v_mul_hi_u32 v17, v14, v22
	v_xor_b32_e32 v15, s71, v15
	s_mov_b32 s2, s12
	v_mul_lo_u32 v29, v17, s72
	v_add_u32_e32 v30, 1, v17
	v_sub_u32_e32 v14, v14, v29
	v_cmp_le_u32_e32 vcc, s72, v14
	v_subrev_u32_e32 v29, s72, v14
	v_cndmask_b32_e32 v17, v17, v30, vcc
	v_cndmask_b32_e32 v14, v14, v29, vcc
	v_add_u32_e32 v29, 1, v17
	v_cmp_le_u32_e32 vcc, s72, v14
	v_cndmask_b32_e32 v14, v17, v29, vcc
	v_xor_b32_e32 v14, v14, v15
	v_sub_u32_e32 v14, v14, v15
	v_cmp_gt_i32_e32 vcc, s39, v14
	v_ashrrev_i32_e32 v15, 31, v14
	v_cndmask_b32_e32 v16, 0, v16, vcc
	v_add_co_u32_e32 v14, vcc, v10, v14
	v_addc_co_u32_e32 v15, vcc, v11, v15, vcc
	v_lshlrev_b64 v[14:15], 1, v[14:15]
	v_mov_b32_e32 v17, s47
	v_add_co_u32_e32 v29, vcc, s46, v14
	v_addc_co_u32_e32 v14, vcc, v17, v15, vcc
	v_mul_lo_u32 v17, s33, v14
	v_mov_b32_e32 v14, s18
	v_mov_b32_e32 v15, s19
	v_mul_lo_u32 v30, s60, v29
	v_mad_u64_u32 v[14:15], s[0:1], s33, v29, v[14:15]
	v_and_b32_e32 v16, v28, v16
	v_and_b32_e32 v16, 1, v16
	v_cmp_eq_u32_e32 vcc, 1, v16
	v_add3_u32 v15, v30, v15, v17
	v_mov_b32_e32 v17, v13
	v_mov_b32_e32 v16, v12
	s_branch .LBB76_31
.LBB76_30:                              ;   in Loop: Header=BB76_31 Depth=5
	s_or_b64 exec, exec, s[0:1]
	v_add_co_u32_e64 v14, s[0:1], 2, v14
	v_addc_co_u32_e64 v15, s[0:1], 0, v15, s[0:1]
	s_add_i32 s2, s2, -1
	v_mov_b32_e32 v29, s51
	v_add_co_u32_e64 v16, s[0:1], s50, v16
	s_cmp_eq_u32 s2, 0
	v_addc_co_u32_e64 v17, s[0:1], v17, v29, s[0:1]
	s_cbranch_scc1 .LBB76_23
.LBB76_31:                              ;   Parent Loop BB76_3 Depth=1
                                        ;     Parent Loop BB76_8 Depth=2
                                        ;       Parent Loop BB76_17 Depth=3
                                        ;         Parent Loop BB76_24 Depth=4
                                        ; =>        This Inner Loop Header: Depth=5
	s_and_saveexec_b64 s[0:1], vcc
	s_cbranch_execz .LBB76_30
; %bb.32:                               ;   in Loop: Header=BB76_31 Depth=5
	global_load_ushort v29, v[14:15], off
	global_load_ushort v30, v[16:17], off
	s_waitcnt vmcnt(1)
	v_cvt_f32_f16_e32 v29, v29
	s_waitcnt vmcnt(0)
	v_cvt_f32_f16_e32 v31, v30
	v_cvt_f64_f32_e32 v[29:30], v29
	v_cvt_f64_f32_e32 v[31:32], v31
	v_fma_f64 v[1:2], v[29:30], v[31:32], v[1:2]
	s_branch .LBB76_30
.LBB76_33:                              ;   in Loop: Header=BB76_3 Depth=1
	v_ashrrev_i32_e32 v6, 31, v5
	v_mad_i64_i32 v[5:6], s[0:1], v25, s10, v[5:6]
	s_and_b64 vcc, exec, s[44:45]
	v_mul_lo_u32 v7, v5, s56
	v_mul_lo_u32 v6, v6, s35
	v_mad_u64_u32 v[3:4], s[0:1], v5, s35, v[3:4]
	s_mov_b64 s[0:1], -1
	v_add3_u32 v4, v6, v4, v7
	s_cbranch_vccz .LBB76_35
; %bb.34:                               ;   in Loop: Header=BB76_3 Depth=1
	v_lshlrev_b64 v[5:6], 1, v[3:4]
	v_mov_b32_e32 v7, s58
	v_add_co_u32_e32 v5, vcc, s57, v5
	v_addc_co_u32_e32 v6, vcc, v7, v6, vcc
	global_load_ushort v7, v[5:6], off
	s_mov_b64 s[0:1], 0
	s_waitcnt vmcnt(0)
	v_cvt_f32_f16_e32 v7, v7
	v_cvt_f64_f32_e32 v[7:8], v7
	v_mul_f64 v[7:8], s[30:31], v[7:8]
	v_fma_f64 v[7:8], s[28:29], v[1:2], v[7:8]
	v_and_or_b32 v7, v8, s75, v7
	v_cmp_ne_u32_e32 vcc, 0, v7
	v_lshrrev_b32_e32 v9, 8, v8
	v_bfe_u32 v10, v8, 20, 11
	v_cndmask_b32_e64 v7, 0, 1, vcc
	v_sub_u32_e32 v11, 0x3f1, v10
	v_and_or_b32 v7, v9, s76, v7
	v_med3_i32 v9, v11, 0, 13
	v_or_b32_e32 v11, 0x1000, v7
	v_lshrrev_b32_e32 v13, v9, v11
	v_add_u32_e32 v10, 0xfffffc10, v10
	v_cmp_ne_u32_e32 vcc, 0, v7
	v_lshlrev_b32_e32 v9, v9, v13
	v_lshl_or_b32 v12, v10, 12, v7
	v_cndmask_b32_e32 v7, v23, v24, vcc
	v_cmp_ne_u32_e32 vcc, v9, v11
	v_cndmask_b32_e64 v9, 0, 1, vcc
	v_or_b32_e32 v9, v13, v9
	v_cmp_gt_i32_e32 vcc, 1, v10
	v_cndmask_b32_e32 v9, v12, v9, vcc
	v_and_b32_e32 v11, 7, v9
	v_cmp_lt_i32_e32 vcc, 5, v11
	v_cndmask_b32_e64 v12, 0, 1, vcc
	v_cmp_eq_u32_e32 vcc, 3, v11
	v_cndmask_b32_e64 v11, 0, 1, vcc
	v_lshrrev_b32_e32 v9, 2, v9
	v_or_b32_e32 v11, v11, v12
	v_add_u32_e32 v9, v9, v11
	v_cmp_gt_i32_e32 vcc, 31, v10
	v_cndmask_b32_e32 v9, v23, v9, vcc
	v_cmp_eq_u32_e32 vcc, s77, v10
	v_lshrrev_b32_e32 v8, 16, v8
	v_cndmask_b32_e32 v7, v9, v7, vcc
	v_and_or_b32 v7, v8, s78, v7
	global_store_short v[5:6], v7, off
.LBB76_35:                              ;   in Loop: Header=BB76_3 Depth=1
	s_andn2_b64 vcc, exec, s[0:1]
	s_cbranch_vccnz .LBB76_2
; %bb.36:                               ;   in Loop: Header=BB76_3 Depth=1
	v_and_or_b32 v1, v2, s75, v1
	v_cmp_ne_u32_e32 vcc, 0, v1
	v_cndmask_b32_e64 v1, 0, 1, vcc
	v_lshrrev_b32_e32 v5, 8, v2
	v_bfe_u32 v6, v2, 20, 11
	v_and_or_b32 v1, v5, s76, v1
	v_sub_u32_e32 v7, 0x3f1, v6
	v_or_b32_e32 v5, 0x1000, v1
	v_med3_i32 v7, v7, 0, 13
	v_lshrrev_b32_e32 v8, v7, v5
	v_lshlrev_b32_e32 v7, v7, v8
	v_cmp_ne_u32_e32 vcc, v7, v5
	v_cndmask_b32_e64 v5, 0, 1, vcc
	v_add_u32_e32 v6, 0xfffffc10, v6
	v_or_b32_e32 v5, v8, v5
	v_lshl_or_b32 v7, v6, 12, v1
	v_cmp_gt_i32_e32 vcc, 1, v6
	v_cndmask_b32_e32 v5, v7, v5, vcc
	v_and_b32_e32 v7, 7, v5
	v_cmp_lt_i32_e32 vcc, 5, v7
	v_cndmask_b32_e64 v8, 0, 1, vcc
	v_cmp_eq_u32_e32 vcc, 3, v7
	v_cndmask_b32_e64 v7, 0, 1, vcc
	v_or_b32_e32 v7, v7, v8
	v_lshrrev_b32_e32 v5, 2, v5
	v_add_u32_e32 v5, v5, v7
	v_cmp_gt_i32_e32 vcc, 31, v6
	v_cndmask_b32_e32 v5, v23, v5, vcc
	v_cmp_ne_u32_e32 vcc, 0, v1
	v_cndmask_b32_e32 v1, v23, v24, vcc
	v_cmp_eq_u32_e32 vcc, s77, v6
	v_cndmask_b32_e32 v1, v5, v1, vcc
	v_lshrrev_b32_e32 v2, 16, v2
	v_and_or_b32 v5, v2, s78, v1
	v_lshlrev_b64 v[1:2], 1, v[3:4]
	v_mov_b32_e32 v3, s58
	v_add_co_u32_e32 v1, vcc, s57, v1
	v_addc_co_u32_e32 v2, vcc, v3, v2, vcc
	global_store_short v[1:2], v5, off
	s_branch .LBB76_2
.LBB76_37:
	s_endpgm
	.section	.rodata,"a",@progbits
	.p2align	6, 0x0
	.amdhsa_kernel naive_conv_ab_packed_bwd_ndhwc_half_double_half
		.amdhsa_group_segment_fixed_size 0
		.amdhsa_private_segment_fixed_size 0
		.amdhsa_kernarg_size 528
		.amdhsa_user_sgpr_count 6
		.amdhsa_user_sgpr_private_segment_buffer 1
		.amdhsa_user_sgpr_dispatch_ptr 0
		.amdhsa_user_sgpr_queue_ptr 0
		.amdhsa_user_sgpr_kernarg_segment_ptr 1
		.amdhsa_user_sgpr_dispatch_id 0
		.amdhsa_user_sgpr_flat_scratch_init 0
		.amdhsa_user_sgpr_private_segment_size 0
		.amdhsa_uses_dynamic_stack 0
		.amdhsa_system_sgpr_private_segment_wavefront_offset 0
		.amdhsa_system_sgpr_workgroup_id_x 1
		.amdhsa_system_sgpr_workgroup_id_y 0
		.amdhsa_system_sgpr_workgroup_id_z 0
		.amdhsa_system_sgpr_workgroup_info 0
		.amdhsa_system_vgpr_workitem_id 0
		.amdhsa_next_free_vgpr 33
		.amdhsa_next_free_sgpr 84
		.amdhsa_reserve_vcc 1
		.amdhsa_reserve_flat_scratch 0
		.amdhsa_float_round_mode_32 0
		.amdhsa_float_round_mode_16_64 0
		.amdhsa_float_denorm_mode_32 3
		.amdhsa_float_denorm_mode_16_64 3
		.amdhsa_dx10_clamp 1
		.amdhsa_ieee_mode 1
		.amdhsa_fp16_overflow 0
		.amdhsa_exception_fp_ieee_invalid_op 0
		.amdhsa_exception_fp_denorm_src 0
		.amdhsa_exception_fp_ieee_div_zero 0
		.amdhsa_exception_fp_ieee_overflow 0
		.amdhsa_exception_fp_ieee_underflow 0
		.amdhsa_exception_fp_ieee_inexact 0
		.amdhsa_exception_int_div_zero 0
	.end_amdhsa_kernel
	.text
.Lfunc_end76:
	.size	naive_conv_ab_packed_bwd_ndhwc_half_double_half, .Lfunc_end76-naive_conv_ab_packed_bwd_ndhwc_half_double_half
                                        ; -- End function
	.set naive_conv_ab_packed_bwd_ndhwc_half_double_half.num_vgpr, 33
	.set naive_conv_ab_packed_bwd_ndhwc_half_double_half.num_agpr, 0
	.set naive_conv_ab_packed_bwd_ndhwc_half_double_half.numbered_sgpr, 84
	.set naive_conv_ab_packed_bwd_ndhwc_half_double_half.num_named_barrier, 0
	.set naive_conv_ab_packed_bwd_ndhwc_half_double_half.private_seg_size, 0
	.set naive_conv_ab_packed_bwd_ndhwc_half_double_half.uses_vcc, 1
	.set naive_conv_ab_packed_bwd_ndhwc_half_double_half.uses_flat_scratch, 0
	.set naive_conv_ab_packed_bwd_ndhwc_half_double_half.has_dyn_sized_stack, 0
	.set naive_conv_ab_packed_bwd_ndhwc_half_double_half.has_recursion, 0
	.set naive_conv_ab_packed_bwd_ndhwc_half_double_half.has_indirect_call, 0
	.section	.AMDGPU.csdata,"",@progbits
; Kernel info:
; codeLenInByte = 3128
; TotalNumSgprs: 88
; NumVgprs: 33
; ScratchSize: 0
; MemoryBound: 0
; FloatMode: 240
; IeeeMode: 1
; LDSByteSize: 0 bytes/workgroup (compile time only)
; SGPRBlocks: 10
; VGPRBlocks: 8
; NumSGPRsForWavesPerEU: 88
; NumVGPRsForWavesPerEU: 33
; Occupancy: 7
; WaveLimiterHint : 1
; COMPUTE_PGM_RSRC2:SCRATCH_EN: 0
; COMPUTE_PGM_RSRC2:USER_SGPR: 6
; COMPUTE_PGM_RSRC2:TRAP_HANDLER: 0
; COMPUTE_PGM_RSRC2:TGID_X_EN: 1
; COMPUTE_PGM_RSRC2:TGID_Y_EN: 0
; COMPUTE_PGM_RSRC2:TGID_Z_EN: 0
; COMPUTE_PGM_RSRC2:TIDIG_COMP_CNT: 0
	.text
	.protected	naive_conv_ab_nonpacked_bwd_ndhwc_half_double_half ; -- Begin function naive_conv_ab_nonpacked_bwd_ndhwc_half_double_half
	.globl	naive_conv_ab_nonpacked_bwd_ndhwc_half_double_half
	.p2align	8
	.type	naive_conv_ab_nonpacked_bwd_ndhwc_half_double_half,@function
naive_conv_ab_nonpacked_bwd_ndhwc_half_double_half: ; @naive_conv_ab_nonpacked_bwd_ndhwc_half_double_half
; %bb.0:
	s_load_dwordx16 s[8:23], s[4:5], 0xb8
	s_abs_i32 s0, s6
	s_waitcnt lgkmcnt(0)
	s_abs_i32 s1, s8
	v_cvt_f32_u32_e32 v1, s1
	s_sub_i32 s2, 0, s1
	s_mul_i32 s3, s11, s8
	v_rcp_iflag_f32_e32 v1, v1
	v_mul_f32_e32 v1, 0x4f7ffffe, v1
	v_cvt_u32_f32_e32 v1, v1
	v_readfirstlane_b32 s7, v1
	s_mul_i32 s2, s2, s7
	s_mul_hi_u32 s2, s7, s2
	s_add_i32 s7, s7, s2
	s_mul_hi_u32 s2, s0, s7
	s_mul_i32 s7, s2, s1
	s_sub_i32 s7, s0, s7
	s_add_i32 s24, s2, 1
	s_sub_i32 s25, s7, s1
	s_cmp_ge_u32 s7, s1
	s_cselect_b32 s2, s24, s2
	s_cselect_b32 s7, s25, s7
	s_add_i32 s24, s2, 1
	s_cmp_ge_u32 s7, s1
	s_cselect_b32 s7, s24, s2
	s_abs_i32 s2, s11
	s_abs_i32 s1, s3
	v_cvt_f32_u32_e32 v1, s2
	v_cvt_f32_u32_e32 v2, s1
	s_mul_i32 s11, s13, s10
	s_mul_i32 s33, s11, s9
	v_rcp_iflag_f32_e32 v1, v1
	v_rcp_iflag_f32_e32 v2, v2
	v_cmp_gt_i32_e32 vcc, s33, v0
	v_mul_f32_e32 v1, 0x4f7ffffe, v1
	v_mul_f32_e32 v2, 0x4f7ffffe, v2
	v_cvt_u32_f32_e32 v1, v1
	v_cvt_u32_f32_e32 v2, v2
	v_readfirstlane_b32 s34, v1
	v_readfirstlane_b32 s9, v2
	s_and_saveexec_b64 s[24:25], vcc
	s_cbranch_execz .LBB77_37
; %bb.1:
	s_ashr_i32 s35, s6, 31
	s_ashr_i32 s36, s8, 31
	s_xor_b32 s36, s35, s36
	s_xor_b32 s7, s7, s36
	s_sub_i32 s7, s7, s36
	s_sub_i32 s36, 0, s2
	s_mul_i32 s36, s36, s34
	s_mul_hi_u32 s36, s34, s36
	s_abs_i32 s53, s7
	s_add_i32 s34, s34, s36
	s_mul_hi_u32 s34, s53, s34
	s_sub_i32 s36, 0, s1
	s_ashr_i32 s52, s7, 31
	s_mul_i32 s36, s36, s9
	s_mul_i32 s7, s7, s8
	;; [unrolled: 1-line block ×3, first 2 shown]
	s_mul_hi_u32 s36, s9, s36
	s_sub_i32 s8, s6, s7
	s_sub_i32 s6, s53, s34
	s_ashr_i32 s3, s3, 31
	s_add_i32 s9, s9, s36
	s_sub_i32 s7, s6, s2
	s_cmp_ge_u32 s6, s2
	s_cselect_b32 s6, s7, s6
	s_sub_i32 s7, s6, s2
	s_cmp_ge_u32 s6, s2
	s_cselect_b32 s2, s7, s6
	s_mul_hi_u32 s9, s0, s9
	s_xor_b32 s2, s2, s52
	s_sub_i32 s83, s2, s52
	s_xor_b32 s2, s35, s3
	s_mul_i32 s3, s9, s1
	s_sub_i32 s0, s0, s3
	s_add_i32 s3, s9, 1
	s_sub_i32 s6, s0, s1
	s_cmp_ge_u32 s0, s1
	s_cselect_b32 s3, s3, s9
	s_load_dwordx16 s[36:51], s[4:5], 0x28
	s_cselect_b32 s0, s6, s0
	s_add_i32 s6, s3, 1
	s_cmp_ge_u32 s0, s1
	s_cselect_b32 s0, s6, s3
	s_xor_b32 s0, s0, s2
	s_load_dwordx8 s[24:31], s[4:5], 0x0
	s_sub_i32 s84, s0, s2
	s_ashr_i32 s85, s83, 31
	s_waitcnt lgkmcnt(0)
	s_mul_i32 s0, s46, s85
	s_mul_hi_u32 s1, s46, s83
	s_ashr_i32 s2, s8, 31
	s_ashr_i32 s86, s84, 31
	s_add_i32 s0, s1, s0
	s_mul_i32 s1, s47, s83
	s_mul_i32 s2, s44, s2
	s_mul_hi_u32 s3, s44, s8
	s_mul_i32 s6, s38, s86
	s_mul_hi_u32 s7, s38, s84
	s_add_i32 s1, s0, s1
	s_mul_i32 s0, s46, s83
	s_add_i32 s2, s3, s2
	s_mul_i32 s3, s45, s8
	s_add_i32 s6, s7, s6
	s_mul_i32 s7, s39, s84
	s_add_i32 s3, s2, s3
	s_add_i32 s7, s6, s7
	s_lshl_b64 s[0:1], s[0:1], 1
	s_mul_i32 s2, s44, s8
	s_add_u32 s6, s24, s0
	s_addc_u32 s9, s25, s1
	s_lshl_b64 s[0:1], s[2:3], 1
	s_add_u32 s24, s6, s0
	s_addc_u32 s9, s9, s1
	s_load_dwordx4 s[44:47], s[4:5], 0xf8
	s_load_dwordx4 s[0:3], s[4:5], 0xa8
	s_mul_i32 s6, s38, s84
	s_lshl_b64 s[6:7], s[6:7], 1
	s_add_u32 s68, s24, s6
	s_load_dword s70, s[4:5], 0x108
	s_load_dword s73, s[4:5], 0x11c
	s_addc_u32 s69, s9, s7
	s_waitcnt lgkmcnt(0)
	s_cmp_lt_i32 s46, 1
	s_cselect_b64 s[6:7], -1, 0
	s_add_i32 s23, s8, s23
	s_cmp_gt_i32 s47, 0
	s_cselect_b64 s[8:9], -1, 0
	s_cmp_gt_i32 s70, 0
	s_cselect_b64 s[24:25], -1, 0
	;; [unrolled: 2-line block ×3, first 2 shown]
	s_abs_i32 s71, s17
	v_cvt_f32_u32_e32 v1, s71
	v_cmp_neq_f64_e64 s[38:39], s[28:29], 1.0
	v_cmp_neq_f64_e64 s[52:53], s[30:31], 0
	s_sub_i32 s72, 0, s71
	v_rcp_iflag_f32_e32 v1, v1
	s_abs_i32 s77, s13
	s_abs_i32 s78, s10
	;; [unrolled: 1-line block ×3, first 2 shown]
	v_mul_f32_e32 v1, 0x4f7ffffe, v1
	v_cvt_u32_f32_e32 v1, v1
	s_or_b64 s[38:39], s[38:39], s[52:53]
	s_load_dwordx16 s[52:67], s[4:5], 0x68
	s_abs_i32 s82, s19
	v_readfirstlane_b32 s74, v1
	s_mul_i32 s72, s72, s74
	v_cvt_f32_u32_e32 v1, s77
	s_mul_hi_u32 s72, s74, s72
	s_add_i32 s72, s74, s72
	s_waitcnt lgkmcnt(0)
	s_mul_i32 s74, s58, s86
	s_mul_hi_u32 s75, s58, s84
	s_add_i32 s76, s75, s74
	s_abs_i32 s75, s11
	v_rcp_iflag_f32_e32 v1, v1
	v_cvt_f32_u32_e32 v3, s78
	v_cvt_f32_u32_e32 v5, s75
	;; [unrolled: 1-line block ×4, first 2 shown]
	v_mul_f32_e32 v1, 0x4f7ffffe, v1
	v_rcp_iflag_f32_e32 v3, v3
	v_rcp_iflag_f32_e32 v5, v5
	;; [unrolled: 1-line block ×4, first 2 shown]
	v_cvt_u32_f32_e32 v1, v1
	s_ashr_i32 s74, s11, 31
	s_mul_i32 s11, s59, s84
	s_add_i32 s59, s76, s11
	s_mul_i32 s58, s58, s84
	s_and_b32 s73, s73, 0xffff
	s_lshl_b64 s[58:59], s[58:59], 1
	s_ashr_i32 s76, s13, 31
	s_sub_i32 s87, 0, s77
	s_sub_i32 s88, 0, s78
	;; [unrolled: 1-line block ×3, first 2 shown]
	s_ashr_i32 s17, s17, 31
	s_ashr_i32 s79, s18, 31
	s_sub_i32 s90, 0, s80
	s_ashr_i32 s81, s19, 31
	s_sub_i32 s91, 0, s82
	v_mul_f32_e32 v3, 0x4f7ffffe, v3
	v_mul_f32_e32 v5, 0x4f7ffffe, v5
	;; [unrolled: 1-line block ×4, first 2 shown]
	s_add_u32 s10, s26, s58
	v_mul_lo_u32 v2, s87, v1
	v_cvt_u32_f32_e32 v3, v3
	v_cvt_u32_f32_e32 v5, v5
	;; [unrolled: 1-line block ×4, first 2 shown]
	s_addc_u32 s11, s27, s59
	s_mul_i32 s18, s62, s86
	s_mul_hi_u32 s19, s62, s84
	s_mul_i32 s26, s2, s85
	s_mul_hi_u32 s27, s2, s83
	s_add_i32 s18, s19, s18
	s_mul_i32 s19, s63, s84
	s_add_i32 s26, s27, s26
	s_mul_i32 s3, s3, s83
	;; [unrolled: 2-line block ×4, first 2 shown]
	s_lshl_b64 s[58:59], s[18:19], 1
	s_lshl_b64 s[2:3], s[2:3], 1
	;; [unrolled: 1-line block ×7, first 2 shown]
	v_mul_lo_u32 v4, s88, v3
	v_mul_lo_u32 v6, s89, v5
	v_mul_lo_u32 v8, s90, v7
	v_mul_lo_u32 v10, s91, v9
	v_mul_hi_u32 v2, v1, v2
	s_add_u32 s54, s58, s2
	s_addc_u32 s55, s59, s3
	s_load_dwordx2 s[2:3], s[4:5], 0x20
	v_add_u32_e32 v15, v1, v2
	v_mul_hi_u32 v1, v3, v4
	v_mul_hi_u32 v2, v5, v6
	;; [unrolled: 1-line block ×4, first 2 shown]
	s_waitcnt lgkmcnt(0)
	s_add_u32 s83, s2, s54
	s_addc_u32 s84, s3, s55
	s_lshl_b64 s[54:55], s[66:67], 1
	s_lshl_b64 s[56:57], s[64:65], 1
	;; [unrolled: 1-line block ×4, first 2 shown]
	v_add_u32_e32 v16, v3, v1
	v_add_u32_e32 v17, v5, v2
	;; [unrolled: 1-line block ×4, first 2 shown]
	v_mov_b32_e32 v20, 0x7c00
	v_mov_b32_e32 v21, 0x7e00
	s_movk_i32 s66, 0x1ff
	s_movk_i32 s67, 0xffe
	;; [unrolled: 1-line block ×3, first 2 shown]
	s_mov_b32 s86, 0x8000
	s_mov_b64 s[62:63], 0
	s_branch .LBB77_3
.LBB77_2:                               ;   in Loop: Header=BB77_3 Depth=1
	v_add_u32_e32 v0, s73, v0
	v_cmp_le_i32_e32 vcc, s33, v0
	s_or_b64 s[62:63], vcc, s[62:63]
	s_andn2_b64 exec, exec, s[62:63]
	s_cbranch_execz .LBB77_37
.LBB77_3:                               ; =>This Loop Header: Depth=1
                                        ;     Child Loop BB77_8 Depth 2
                                        ;       Child Loop BB77_17 Depth 3
                                        ;         Child Loop BB77_24 Depth 4
                                        ;           Child Loop BB77_31 Depth 5
	v_sub_u32_e32 v1, 0, v0
	v_max_i32_e32 v5, v0, v1
	v_mul_hi_u32 v2, v5, v15
	v_ashrrev_i32_e32 v1, 31, v0
	v_xor_b32_e32 v4, s76, v1
	s_mov_b64 s[64:65], -1
	v_mul_lo_u32 v3, v2, s77
	v_add_u32_e32 v6, 1, v2
                                        ; implicit-def: $vgpr23
	v_sub_u32_e32 v3, v5, v3
	v_cmp_le_u32_e32 vcc, s77, v3
	v_cndmask_b32_e32 v2, v2, v6, vcc
	v_subrev_u32_e32 v6, s77, v3
	v_cndmask_b32_e32 v3, v3, v6, vcc
	v_add_u32_e32 v6, 1, v2
	v_cmp_le_u32_e32 vcc, s77, v3
	v_cndmask_b32_e32 v2, v2, v6, vcc
	v_xor_b32_e32 v2, v2, v4
	v_sub_u32_e32 v2, v2, v4
	v_sub_u32_e32 v3, 0, v2
	v_max_i32_e32 v4, v2, v3
	v_mul_hi_u32 v6, v4, v16
	v_mul_hi_u32 v3, v5, v17
	v_mul_lo_u32 v7, v2, s13
	v_mul_lo_u32 v6, v6, s78
	;; [unrolled: 1-line block ×3, first 2 shown]
	v_sub_u32_e32 v22, v0, v7
	v_sub_u32_e32 v4, v4, v6
	v_subrev_u32_e32 v6, s78, v4
	v_cmp_le_u32_e32 vcc, s78, v4
	v_sub_u32_e32 v5, v5, v8
	v_cndmask_b32_e32 v4, v4, v6, vcc
	v_subrev_u32_e32 v6, s75, v5
	v_cmp_le_u32_e64 s[0:1], s75, v5
	v_cndmask_b32_e64 v5, v5, v6, s[0:1]
	v_cmp_le_u32_e64 s[4:5], s78, v4
	v_cmp_le_u32_e64 s[2:3], s75, v5
	s_andn2_b64 vcc, exec, s[6:7]
	s_cbranch_vccnz .LBB77_5
; %bb.4:                                ;   in Loop: Header=BB77_3 Depth=1
	v_ashrrev_i32_e32 v23, 31, v22
	s_mov_b64 s[64:65], 0
.LBB77_5:                               ;   in Loop: Header=BB77_3 Depth=1
	v_subrev_u32_e32 v5, s78, v4
	v_ashrrev_i32_e32 v2, 31, v2
	v_cndmask_b32_e64 v4, v4, v5, s[4:5]
	v_xor_b32_e32 v4, v4, v2
	v_sub_u32_e32 v24, v4, v2
	v_xor_b32_e32 v4, s74, v1
	v_add_u32_e32 v1, 1, v3
	v_cndmask_b32_e64 v1, v3, v1, s[0:1]
	v_add_u32_e32 v2, 1, v1
	v_cndmask_b32_e64 v1, v1, v2, s[2:3]
	v_xor_b32_e32 v3, v1, v4
	v_mov_b32_e32 v1, 0
	v_mov_b32_e32 v2, 0
	s_andn2_b64 vcc, exec, s[64:65]
	v_sub_u32_e32 v25, v3, v4
	s_cbranch_vccnz .LBB77_33
; %bb.6:                                ;   in Loop: Header=BB77_3 Depth=1
	v_mov_b32_e32 v1, s10
	v_ashrrev_i32_e32 v23, 31, v22
	v_mov_b32_e32 v2, s11
	v_mad_u64_u32 v[3:4], s[0:1], s18, v22, v[1:2]
	v_mul_lo_u32 v1, s19, v22
	v_mul_lo_u32 v2, s18, v23
	v_add_u32_e32 v26, s44, v25
	v_add_u32_e32 v27, s45, v24
	s_mov_b32 s64, 0
	v_add3_u32 v4, v1, v4, v2
	v_mov_b32_e32 v1, 0
	v_mov_b32_e32 v2, 0
	s_branch .LBB77_8
.LBB77_7:                               ;   in Loop: Header=BB77_8 Depth=2
	s_add_i32 s64, s64, 1
	v_mov_b32_e32 v5, s27
	v_add_co_u32_e32 v3, vcc, s26, v3
	s_cmp_eq_u32 s64, s46
	v_addc_co_u32_e32 v4, vcc, v4, v5, vcc
	s_cbranch_scc1 .LBB77_33
.LBB77_8:                               ;   Parent Loop BB77_3 Depth=1
                                        ; =>  This Loop Header: Depth=2
                                        ;       Child Loop BB77_17 Depth 3
                                        ;         Child Loop BB77_24 Depth 4
                                        ;           Child Loop BB77_31 Depth 5
	s_mul_i32 s0, s20, s64
	s_sub_i32 s88, s23, s0
	s_cmp_gt_i32 s88, -1
	s_cbranch_scc0 .LBB77_10
; %bb.9:                                ;   in Loop: Header=BB77_8 Depth=2
	s_abs_i32 s0, s88
	s_mul_hi_u32 s5, s0, s72
	s_mul_i32 s1, s5, s71
	s_sub_i32 s65, s0, s1
	s_ashr_i32 s4, s88, 31
	s_sub_i32 s87, s65, s71
	s_cmp_ge_u32 s65, s71
	s_cselect_b32 s0, s87, s65
	s_sub_i32 s1, s0, s71
	s_cmp_ge_u32 s0, s71
	s_cselect_b32 s0, s1, s0
	s_xor_b32 s0, s0, s4
	s_sub_i32 s0, s0, s4
	s_cmp_lg_u32 s0, 0
	s_cselect_b64 s[0:1], -1, 0
	s_cbranch_execz .LBB77_11
	s_branch .LBB77_12
.LBB77_10:                              ;   in Loop: Header=BB77_8 Depth=2
	s_mov_b64 s[0:1], 0
                                        ; implicit-def: $sgpr4
                                        ; implicit-def: $sgpr5
                                        ; implicit-def: $sgpr65
                                        ; implicit-def: $sgpr87
.LBB77_11:                              ;   in Loop: Header=BB77_8 Depth=2
	s_abs_i32 s0, s88
	s_mul_hi_u32 s5, s0, s72
	s_mul_i32 s1, s5, s71
	s_sub_i32 s65, s0, s1
	s_ashr_i32 s4, s88, 31
	s_sub_i32 s87, s65, s71
	s_mov_b64 s[0:1], -1
.LBB77_12:                              ;   in Loop: Header=BB77_8 Depth=2
	s_andn2_b64 vcc, exec, s[0:1]
	s_mov_b32 s0, 1
	s_cbranch_vccz .LBB77_14
; %bb.13:                               ;   in Loop: Header=BB77_8 Depth=2
	s_andn2_b64 vcc, exec, s[8:9]
	s_cbranch_vccz .LBB77_15
	s_branch .LBB77_7
.LBB77_14:                              ;   in Loop: Header=BB77_8 Depth=2
	s_mov_b32 s0, 0
	s_andn2_b64 vcc, exec, s[8:9]
	s_cbranch_vccnz .LBB77_7
.LBB77_15:                              ;   in Loop: Header=BB77_8 Depth=2
	s_xor_b32 s1, s4, s17
	s_add_i32 s2, s5, 1
	s_cmp_ge_u32 s65, s71
	s_cselect_b32 s2, s2, s5
	s_cselect_b32 s3, s87, s65
	s_add_i32 s4, s2, 1
	s_cmp_ge_u32 s3, s71
	s_cselect_b32 s2, s4, s2
	s_xor_b32 s2, s2, s1
	s_sub_i32 s1, s2, s1
	s_cmp_lt_i32 s1, s14
	s_cselect_b32 s87, s0, 0
	s_ashr_i32 s0, s1, 31
	s_mul_i32 s0, s60, s0
	s_mul_hi_u32 s2, s60, s1
	s_add_i32 s0, s2, s0
	s_mul_i32 s2, s61, s1
	s_add_i32 s0, s0, s2
	s_mul_i32 s1, s60, s1
	s_add_u32 s2, s83, s1
	v_mov_b32_e32 v6, v4
	s_mov_b32 s65, 0
	s_addc_u32 s3, s84, s0
	v_mov_b32_e32 v5, v3
	s_branch .LBB77_17
.LBB77_16:                              ;   in Loop: Header=BB77_17 Depth=3
	s_add_i32 s65, s65, 1
	v_mov_b32_e32 v7, s49
	v_add_co_u32_e32 v5, vcc, s48, v5
	s_cmp_eq_u32 s65, s47
	v_addc_co_u32_e32 v6, vcc, v6, v7, vcc
	s_cbranch_scc1 .LBB77_7
.LBB77_17:                              ;   Parent Loop BB77_3 Depth=1
                                        ;     Parent Loop BB77_8 Depth=2
                                        ; =>    This Loop Header: Depth=3
                                        ;         Child Loop BB77_24 Depth 4
                                        ;           Child Loop BB77_31 Depth 5
	s_mul_i32 s0, s21, s65
	v_subrev_u32_e32 v7, s0, v26
	v_cmp_gt_i32_e64 s[0:1], 0, v7
	v_cmp_lt_i32_e32 vcc, -1, v7
	v_ashrrev_i32_e32 v8, 31, v7
	v_sub_u32_e32 v9, 0, v7
	s_and_saveexec_b64 s[4:5], vcc
	s_cbranch_execnz .LBB77_20
; %bb.18:                               ;   in Loop: Header=BB77_17 Depth=3
	s_or_b64 exec, exec, s[4:5]
	v_mov_b32_e32 v10, 1
	s_and_saveexec_b64 s[4:5], s[0:1]
	s_cbranch_execnz .LBB77_21
.LBB77_19:                              ;   in Loop: Header=BB77_17 Depth=3
	s_or_b64 exec, exec, s[4:5]
	s_andn2_b64 vcc, exec, s[24:25]
	s_cbranch_vccz .LBB77_22
	s_branch .LBB77_16
.LBB77_20:                              ;   in Loop: Header=BB77_17 Depth=3
	v_max_i32_e32 v10, v7, v9
	v_mul_hi_u32 v11, v10, v18
	s_andn2_b64 s[0:1], s[0:1], exec
	v_mul_lo_u32 v11, v11, s80
	v_sub_u32_e32 v10, v10, v11
	v_subrev_u32_e32 v11, s80, v10
	v_cmp_le_u32_e32 vcc, s80, v10
	v_cndmask_b32_e32 v10, v10, v11, vcc
	v_subrev_u32_e32 v11, s80, v10
	v_cmp_le_u32_e32 vcc, s80, v10
	v_cndmask_b32_e32 v10, v10, v11, vcc
	v_xor_b32_e32 v10, v10, v8
	v_sub_u32_e32 v10, v10, v8
	v_cmp_ne_u32_e32 vcc, 0, v10
	s_and_b64 s[88:89], vcc, exec
	s_or_b64 s[0:1], s[0:1], s[88:89]
	s_or_b64 exec, exec, s[4:5]
	v_mov_b32_e32 v10, 1
	s_and_saveexec_b64 s[4:5], s[0:1]
	s_cbranch_execz .LBB77_19
.LBB77_21:                              ;   in Loop: Header=BB77_17 Depth=3
	v_mov_b32_e32 v10, 0
	s_or_b64 exec, exec, s[4:5]
	s_andn2_b64 vcc, exec, s[24:25]
	s_cbranch_vccnz .LBB77_16
.LBB77_22:                              ;   in Loop: Header=BB77_17 Depth=3
	v_max_i32_e32 v7, v7, v9
	v_mul_hi_u32 v9, v7, v18
	v_xor_b32_e32 v8, s79, v8
	s_mov_b32 s88, 0
	v_mul_lo_u32 v11, v9, s80
	v_add_u32_e32 v12, 1, v9
	v_sub_u32_e32 v7, v7, v11
	v_cmp_le_u32_e32 vcc, s80, v7
	v_subrev_u32_e32 v11, s80, v7
	v_cndmask_b32_e32 v9, v9, v12, vcc
	v_cndmask_b32_e32 v7, v7, v11, vcc
	v_add_u32_e32 v11, 1, v9
	v_cmp_le_u32_e32 vcc, s80, v7
	v_cndmask_b32_e32 v7, v9, v11, vcc
	v_xor_b32_e32 v7, v7, v8
	v_sub_u32_e32 v9, v7, v8
	v_ashrrev_i32_e32 v7, 31, v9
	v_mul_lo_u32 v11, s54, v7
	v_mov_b32_e32 v8, s3
	v_mov_b32_e32 v7, s2
	v_mul_lo_u32 v12, s55, v9
	v_mad_u64_u32 v[7:8], s[0:1], s54, v9, v[7:8]
	v_cmp_gt_i32_e32 vcc, s15, v9
	v_cndmask_b32_e32 v9, 0, v10, vcc
	v_and_b32_e32 v28, s87, v9
	v_mov_b32_e32 v10, v6
	v_add3_u32 v8, v12, v8, v11
	v_mov_b32_e32 v9, v5
	s_branch .LBB77_24
.LBB77_23:                              ;   in Loop: Header=BB77_24 Depth=4
	s_add_i32 s88, s88, 1
	v_mov_b32_e32 v11, s51
	v_add_co_u32_e32 v9, vcc, s50, v9
	s_cmp_eq_u32 s88, s70
	v_addc_co_u32_e32 v10, vcc, v10, v11, vcc
	s_cbranch_scc1 .LBB77_16
.LBB77_24:                              ;   Parent Loop BB77_3 Depth=1
                                        ;     Parent Loop BB77_8 Depth=2
                                        ;       Parent Loop BB77_17 Depth=3
                                        ; =>      This Loop Header: Depth=4
                                        ;           Child Loop BB77_31 Depth 5
	s_mul_i32 s0, s22, s88
	v_subrev_u32_e32 v11, s0, v27
	v_sub_u32_e32 v13, 0, v11
	v_cmp_gt_i32_e64 s[0:1], 0, v11
	v_cmp_lt_i32_e32 vcc, -1, v11
	v_ashrrev_i32_e32 v12, 31, v11
	v_max_i32_e32 v11, v11, v13
	s_and_saveexec_b64 s[4:5], vcc
	s_cbranch_execnz .LBB77_27
; %bb.25:                               ;   in Loop: Header=BB77_24 Depth=4
	s_or_b64 exec, exec, s[4:5]
	v_mov_b32_e32 v13, 1
	s_and_saveexec_b64 s[4:5], s[0:1]
	s_cbranch_execnz .LBB77_28
.LBB77_26:                              ;   in Loop: Header=BB77_24 Depth=4
	s_or_b64 exec, exec, s[4:5]
	s_andn2_b64 vcc, exec, s[34:35]
	s_cbranch_vccz .LBB77_29
	s_branch .LBB77_23
.LBB77_27:                              ;   in Loop: Header=BB77_24 Depth=4
	v_mul_hi_u32 v13, v11, v19
	s_andn2_b64 s[0:1], s[0:1], exec
	v_mul_lo_u32 v13, v13, s82
	v_sub_u32_e32 v13, v11, v13
	v_subrev_u32_e32 v14, s82, v13
	v_cmp_le_u32_e32 vcc, s82, v13
	v_cndmask_b32_e32 v13, v13, v14, vcc
	v_subrev_u32_e32 v14, s82, v13
	v_cmp_le_u32_e32 vcc, s82, v13
	v_cndmask_b32_e32 v13, v13, v14, vcc
	v_xor_b32_e32 v13, v13, v12
	v_sub_u32_e32 v13, v13, v12
	v_cmp_ne_u32_e32 vcc, 0, v13
	s_and_b64 s[90:91], vcc, exec
	s_or_b64 s[0:1], s[0:1], s[90:91]
	s_or_b64 exec, exec, s[4:5]
	v_mov_b32_e32 v13, 1
	s_and_saveexec_b64 s[4:5], s[0:1]
	s_cbranch_execz .LBB77_26
.LBB77_28:                              ;   in Loop: Header=BB77_24 Depth=4
	v_mov_b32_e32 v13, 0
	s_or_b64 exec, exec, s[4:5]
	s_andn2_b64 vcc, exec, s[34:35]
	s_cbranch_vccnz .LBB77_23
.LBB77_29:                              ;   in Loop: Header=BB77_24 Depth=4
	v_mul_hi_u32 v14, v11, v19
	v_xor_b32_e32 v12, s81, v12
	s_mov_b32 s4, s12
	v_mul_lo_u32 v29, v14, s82
	v_add_u32_e32 v30, 1, v14
	v_sub_u32_e32 v11, v11, v29
	v_cmp_le_u32_e32 vcc, s82, v11
	v_subrev_u32_e32 v29, s82, v11
	v_cndmask_b32_e32 v14, v14, v30, vcc
	v_cndmask_b32_e32 v11, v11, v29, vcc
	v_add_u32_e32 v29, 1, v14
	v_cmp_le_u32_e32 vcc, s82, v11
	v_cndmask_b32_e32 v11, v14, v29, vcc
	v_xor_b32_e32 v11, v11, v12
	v_sub_u32_e32 v11, v11, v12
	v_ashrrev_i32_e32 v12, 31, v11
	v_cmp_gt_i32_e32 vcc, s16, v11
	v_mul_lo_u32 v14, s56, v12
	v_mul_lo_u32 v29, s57, v11
	v_mad_u64_u32 v[11:12], s[0:1], s56, v11, v[7:8]
	v_cndmask_b32_e32 v13, 0, v13, vcc
	v_and_b32_e32 v13, v28, v13
	v_and_b32_e32 v13, 1, v13
	v_cmp_eq_u32_e32 vcc, 1, v13
	v_add3_u32 v12, v29, v12, v14
	v_mov_b32_e32 v14, v10
	v_mov_b32_e32 v13, v9
	s_branch .LBB77_31
.LBB77_30:                              ;   in Loop: Header=BB77_31 Depth=5
	s_or_b64 exec, exec, s[0:1]
	v_mov_b32_e32 v29, s53
	v_add_co_u32_e64 v13, s[0:1], s52, v13
	v_addc_co_u32_e64 v14, s[0:1], v14, v29, s[0:1]
	s_add_i32 s4, s4, -1
	v_mov_b32_e32 v29, s59
	v_add_co_u32_e64 v11, s[0:1], s58, v11
	s_cmp_eq_u32 s4, 0
	v_addc_co_u32_e64 v12, s[0:1], v12, v29, s[0:1]
	s_cbranch_scc1 .LBB77_23
.LBB77_31:                              ;   Parent Loop BB77_3 Depth=1
                                        ;     Parent Loop BB77_8 Depth=2
                                        ;       Parent Loop BB77_17 Depth=3
                                        ;         Parent Loop BB77_24 Depth=4
                                        ; =>        This Inner Loop Header: Depth=5
	s_and_saveexec_b64 s[0:1], vcc
	s_cbranch_execz .LBB77_30
; %bb.32:                               ;   in Loop: Header=BB77_31 Depth=5
	global_load_ushort v29, v[11:12], off
	global_load_ushort v30, v[13:14], off
	s_waitcnt vmcnt(1)
	v_cvt_f32_f16_e32 v29, v29
	s_waitcnt vmcnt(0)
	v_cvt_f32_f16_e32 v31, v30
	v_cvt_f64_f32_e32 v[29:30], v29
	v_cvt_f64_f32_e32 v[31:32], v31
	v_fma_f64 v[1:2], v[29:30], v[31:32], v[1:2]
	s_branch .LBB77_30
.LBB77_33:                              ;   in Loop: Header=BB77_3 Depth=1
	v_ashrrev_i32_e32 v3, 31, v24
	v_mul_lo_u32 v5, s41, v24
	v_mul_lo_u32 v6, s40, v3
	v_mad_u64_u32 v[3:4], s[0:1], s40, v24, 0
	v_ashrrev_i32_e32 v7, 31, v25
	s_and_b64 vcc, exec, s[38:39]
	v_add3_u32 v4, v4, v6, v5
	v_mad_u64_u32 v[3:4], s[0:1], s42, v25, v[3:4]
	v_mul_lo_u32 v5, s43, v25
	v_mul_lo_u32 v6, s42, v7
	v_add3_u32 v4, v5, v4, v6
	v_mad_u64_u32 v[3:4], s[0:1], v22, s36, v[3:4]
	v_mul_lo_u32 v5, v22, s37
	v_mul_lo_u32 v6, v23, s36
	s_mov_b64 s[0:1], -1
	v_add3_u32 v4, v6, v4, v5
	s_cbranch_vccz .LBB77_35
; %bb.34:                               ;   in Loop: Header=BB77_3 Depth=1
	v_lshlrev_b64 v[5:6], 1, v[3:4]
	v_mov_b32_e32 v7, s69
	v_add_co_u32_e32 v5, vcc, s68, v5
	v_addc_co_u32_e32 v6, vcc, v7, v6, vcc
	global_load_ushort v7, v[5:6], off
	s_mov_b64 s[0:1], 0
	s_waitcnt vmcnt(0)
	v_cvt_f32_f16_e32 v7, v7
	v_cvt_f64_f32_e32 v[7:8], v7
	v_mul_f64 v[7:8], s[30:31], v[7:8]
	v_fma_f64 v[7:8], s[28:29], v[1:2], v[7:8]
	v_and_or_b32 v7, v8, s66, v7
	v_cmp_ne_u32_e32 vcc, 0, v7
	v_lshrrev_b32_e32 v9, 8, v8
	v_bfe_u32 v10, v8, 20, 11
	v_cndmask_b32_e64 v7, 0, 1, vcc
	v_sub_u32_e32 v11, 0x3f1, v10
	v_and_or_b32 v7, v9, s67, v7
	v_med3_i32 v9, v11, 0, 13
	v_or_b32_e32 v11, 0x1000, v7
	v_lshrrev_b32_e32 v13, v9, v11
	v_add_u32_e32 v10, 0xfffffc10, v10
	v_cmp_ne_u32_e32 vcc, 0, v7
	v_lshlrev_b32_e32 v9, v9, v13
	v_lshl_or_b32 v12, v10, 12, v7
	v_cndmask_b32_e32 v7, v20, v21, vcc
	v_cmp_ne_u32_e32 vcc, v9, v11
	v_cndmask_b32_e64 v9, 0, 1, vcc
	v_or_b32_e32 v9, v13, v9
	v_cmp_gt_i32_e32 vcc, 1, v10
	v_cndmask_b32_e32 v9, v12, v9, vcc
	v_and_b32_e32 v11, 7, v9
	v_cmp_lt_i32_e32 vcc, 5, v11
	v_cndmask_b32_e64 v12, 0, 1, vcc
	v_cmp_eq_u32_e32 vcc, 3, v11
	v_cndmask_b32_e64 v11, 0, 1, vcc
	v_lshrrev_b32_e32 v9, 2, v9
	v_or_b32_e32 v11, v11, v12
	v_add_u32_e32 v9, v9, v11
	v_cmp_gt_i32_e32 vcc, 31, v10
	v_cndmask_b32_e32 v9, v20, v9, vcc
	v_cmp_eq_u32_e32 vcc, s85, v10
	v_lshrrev_b32_e32 v8, 16, v8
	v_cndmask_b32_e32 v7, v9, v7, vcc
	v_and_or_b32 v7, v8, s86, v7
	global_store_short v[5:6], v7, off
.LBB77_35:                              ;   in Loop: Header=BB77_3 Depth=1
	s_andn2_b64 vcc, exec, s[0:1]
	s_cbranch_vccnz .LBB77_2
; %bb.36:                               ;   in Loop: Header=BB77_3 Depth=1
	v_and_or_b32 v1, v2, s66, v1
	v_cmp_ne_u32_e32 vcc, 0, v1
	v_cndmask_b32_e64 v1, 0, 1, vcc
	v_lshrrev_b32_e32 v5, 8, v2
	v_bfe_u32 v6, v2, 20, 11
	v_and_or_b32 v1, v5, s67, v1
	v_sub_u32_e32 v7, 0x3f1, v6
	v_or_b32_e32 v5, 0x1000, v1
	v_med3_i32 v7, v7, 0, 13
	v_lshrrev_b32_e32 v8, v7, v5
	v_lshlrev_b32_e32 v7, v7, v8
	v_cmp_ne_u32_e32 vcc, v7, v5
	v_cndmask_b32_e64 v5, 0, 1, vcc
	v_add_u32_e32 v6, 0xfffffc10, v6
	v_or_b32_e32 v5, v8, v5
	v_lshl_or_b32 v7, v6, 12, v1
	v_cmp_gt_i32_e32 vcc, 1, v6
	v_cndmask_b32_e32 v5, v7, v5, vcc
	v_and_b32_e32 v7, 7, v5
	v_cmp_lt_i32_e32 vcc, 5, v7
	v_cndmask_b32_e64 v8, 0, 1, vcc
	v_cmp_eq_u32_e32 vcc, 3, v7
	v_cndmask_b32_e64 v7, 0, 1, vcc
	v_or_b32_e32 v7, v7, v8
	v_lshrrev_b32_e32 v5, 2, v5
	v_add_u32_e32 v5, v5, v7
	v_cmp_gt_i32_e32 vcc, 31, v6
	v_cndmask_b32_e32 v5, v20, v5, vcc
	v_cmp_ne_u32_e32 vcc, 0, v1
	v_cndmask_b32_e32 v1, v20, v21, vcc
	v_cmp_eq_u32_e32 vcc, s85, v6
	v_cndmask_b32_e32 v1, v5, v1, vcc
	v_lshrrev_b32_e32 v2, 16, v2
	v_and_or_b32 v5, v2, s86, v1
	v_lshlrev_b64 v[1:2], 1, v[3:4]
	v_mov_b32_e32 v3, s69
	v_add_co_u32_e32 v1, vcc, s68, v1
	v_addc_co_u32_e32 v2, vcc, v3, v2, vcc
	global_store_short v[1:2], v5, off
	s_branch .LBB77_2
.LBB77_37:
	s_endpgm
	.section	.rodata,"a",@progbits
	.p2align	6, 0x0
	.amdhsa_kernel naive_conv_ab_nonpacked_bwd_ndhwc_half_double_half
		.amdhsa_group_segment_fixed_size 0
		.amdhsa_private_segment_fixed_size 0
		.amdhsa_kernarg_size 528
		.amdhsa_user_sgpr_count 6
		.amdhsa_user_sgpr_private_segment_buffer 1
		.amdhsa_user_sgpr_dispatch_ptr 0
		.amdhsa_user_sgpr_queue_ptr 0
		.amdhsa_user_sgpr_kernarg_segment_ptr 1
		.amdhsa_user_sgpr_dispatch_id 0
		.amdhsa_user_sgpr_flat_scratch_init 0
		.amdhsa_user_sgpr_private_segment_size 0
		.amdhsa_uses_dynamic_stack 0
		.amdhsa_system_sgpr_private_segment_wavefront_offset 0
		.amdhsa_system_sgpr_workgroup_id_x 1
		.amdhsa_system_sgpr_workgroup_id_y 0
		.amdhsa_system_sgpr_workgroup_id_z 0
		.amdhsa_system_sgpr_workgroup_info 0
		.amdhsa_system_vgpr_workitem_id 0
		.amdhsa_next_free_vgpr 33
		.amdhsa_next_free_sgpr 92
		.amdhsa_reserve_vcc 1
		.amdhsa_reserve_flat_scratch 0
		.amdhsa_float_round_mode_32 0
		.amdhsa_float_round_mode_16_64 0
		.amdhsa_float_denorm_mode_32 3
		.amdhsa_float_denorm_mode_16_64 3
		.amdhsa_dx10_clamp 1
		.amdhsa_ieee_mode 1
		.amdhsa_fp16_overflow 0
		.amdhsa_exception_fp_ieee_invalid_op 0
		.amdhsa_exception_fp_denorm_src 0
		.amdhsa_exception_fp_ieee_div_zero 0
		.amdhsa_exception_fp_ieee_overflow 0
		.amdhsa_exception_fp_ieee_underflow 0
		.amdhsa_exception_fp_ieee_inexact 0
		.amdhsa_exception_int_div_zero 0
	.end_amdhsa_kernel
	.text
.Lfunc_end77:
	.size	naive_conv_ab_nonpacked_bwd_ndhwc_half_double_half, .Lfunc_end77-naive_conv_ab_nonpacked_bwd_ndhwc_half_double_half
                                        ; -- End function
	.set naive_conv_ab_nonpacked_bwd_ndhwc_half_double_half.num_vgpr, 33
	.set naive_conv_ab_nonpacked_bwd_ndhwc_half_double_half.num_agpr, 0
	.set naive_conv_ab_nonpacked_bwd_ndhwc_half_double_half.numbered_sgpr, 92
	.set naive_conv_ab_nonpacked_bwd_ndhwc_half_double_half.num_named_barrier, 0
	.set naive_conv_ab_nonpacked_bwd_ndhwc_half_double_half.private_seg_size, 0
	.set naive_conv_ab_nonpacked_bwd_ndhwc_half_double_half.uses_vcc, 1
	.set naive_conv_ab_nonpacked_bwd_ndhwc_half_double_half.uses_flat_scratch, 0
	.set naive_conv_ab_nonpacked_bwd_ndhwc_half_double_half.has_dyn_sized_stack, 0
	.set naive_conv_ab_nonpacked_bwd_ndhwc_half_double_half.has_recursion, 0
	.set naive_conv_ab_nonpacked_bwd_ndhwc_half_double_half.has_indirect_call, 0
	.section	.AMDGPU.csdata,"",@progbits
; Kernel info:
; codeLenInByte = 3144
; TotalNumSgprs: 96
; NumVgprs: 33
; ScratchSize: 0
; MemoryBound: 0
; FloatMode: 240
; IeeeMode: 1
; LDSByteSize: 0 bytes/workgroup (compile time only)
; SGPRBlocks: 11
; VGPRBlocks: 8
; NumSGPRsForWavesPerEU: 96
; NumVGPRsForWavesPerEU: 33
; Occupancy: 7
; WaveLimiterHint : 1
; COMPUTE_PGM_RSRC2:SCRATCH_EN: 0
; COMPUTE_PGM_RSRC2:USER_SGPR: 6
; COMPUTE_PGM_RSRC2:TRAP_HANDLER: 0
; COMPUTE_PGM_RSRC2:TGID_X_EN: 1
; COMPUTE_PGM_RSRC2:TGID_Y_EN: 0
; COMPUTE_PGM_RSRC2:TGID_Z_EN: 0
; COMPUTE_PGM_RSRC2:TIDIG_COMP_CNT: 0
	.text
	.protected	naive_conv_ab_packed_bwd_ndhwc_ushort_double_ushort ; -- Begin function naive_conv_ab_packed_bwd_ndhwc_ushort_double_ushort
	.globl	naive_conv_ab_packed_bwd_ndhwc_ushort_double_ushort
	.p2align	8
	.type	naive_conv_ab_packed_bwd_ndhwc_ushort_double_ushort,@function
naive_conv_ab_packed_bwd_ndhwc_ushort_double_ushort: ; @naive_conv_ab_packed_bwd_ndhwc_ushort_double_ushort
; %bb.0:
	s_load_dwordx16 s[8:23], s[4:5], 0xb8
	s_abs_i32 s1, s6
	s_waitcnt lgkmcnt(0)
	s_abs_i32 s0, s8
	v_cvt_f32_u32_e32 v1, s0
	s_sub_i32 s2, 0, s0
	s_mul_i32 s7, s11, s8
	v_rcp_iflag_f32_e32 v1, v1
	v_mul_f32_e32 v1, 0x4f7ffffe, v1
	v_cvt_u32_f32_e32 v1, v1
	v_readfirstlane_b32 s3, v1
	s_mul_i32 s2, s2, s3
	s_mul_hi_u32 s2, s3, s2
	s_add_i32 s3, s3, s2
	s_mul_hi_u32 s2, s1, s3
	s_mul_i32 s3, s2, s0
	s_sub_i32 s3, s1, s3
	s_add_i32 s24, s2, 1
	s_sub_i32 s25, s3, s0
	s_cmp_ge_u32 s3, s0
	s_cselect_b32 s2, s24, s2
	s_cselect_b32 s3, s25, s3
	s_add_i32 s24, s2, 1
	s_cmp_ge_u32 s3, s0
	s_cselect_b32 s34, s24, s2
	s_abs_i32 s3, s11
	s_abs_i32 s2, s7
	v_cvt_f32_u32_e32 v1, s3
	v_cvt_f32_u32_e32 v2, s2
	s_mul_i32 s0, s13, s10
	s_mul_i32 s11, s0, s9
	v_rcp_iflag_f32_e32 v1, v1
	v_rcp_iflag_f32_e32 v2, v2
	v_cmp_gt_i32_e32 vcc, s11, v0
	v_mul_f32_e32 v1, 0x4f7ffffe, v1
	v_mul_f32_e32 v2, 0x4f7ffffe, v2
	v_cvt_u32_f32_e32 v1, v1
	v_cvt_u32_f32_e32 v2, v2
	v_readfirstlane_b32 s35, v1
	v_readfirstlane_b32 s33, v2
	s_and_saveexec_b64 s[24:25], vcc
	s_cbranch_execz .LBB78_37
; %bb.1:
	s_ashr_i32 s40, s6, 31
	s_ashr_i32 s36, s8, 31
	s_xor_b32 s36, s40, s36
	s_xor_b32 s34, s34, s36
	s_sub_i32 s41, s34, s36
	s_sub_i32 s34, 0, s3
	s_mul_i32 s34, s34, s35
	s_mul_hi_u32 s34, s35, s34
	s_abs_i32 s43, s41
	s_add_i32 s35, s35, s34
	s_mul_hi_u32 s44, s43, s35
	s_sub_i32 s34, 0, s2
	s_ashr_i32 s42, s41, 31
	s_mul_i32 s34, s34, s33
	s_mul_i32 s41, s41, s8
	s_mul_i32 s44, s44, s3
	s_mul_hi_u32 s36, s33, s34
	s_sub_i32 s6, s6, s41
	s_sub_i32 s41, s43, s44
	s_ashr_i32 s7, s7, 31
	s_add_i32 s33, s33, s36
	s_sub_i32 s43, s41, s3
	s_cmp_ge_u32 s41, s3
	s_cselect_b32 s41, s43, s41
	s_sub_i32 s43, s41, s3
	s_cmp_ge_u32 s41, s3
	s_cselect_b32 s3, s43, s41
	s_mul_hi_u32 s45, s1, s33
	s_xor_b32 s3, s3, s42
	s_sub_i32 s47, s3, s42
	s_xor_b32 s3, s40, s7
	s_mul_i32 s7, s45, s2
	s_sub_i32 s1, s1, s7
	s_add_i32 s7, s45, 1
	s_sub_i32 s40, s1, s2
	s_load_dwordx2 s[34:35], s[4:5], 0x108
	s_cmp_ge_u32 s1, s2
	s_cselect_b32 s7, s7, s45
	s_cselect_b32 s1, s40, s1
	s_add_i32 s40, s7, 1
	s_cmp_ge_u32 s1, s2
	s_cselect_b32 s1, s40, s7
	s_waitcnt lgkmcnt(0)
	s_mul_i32 s33, s35, s12
	s_mul_i32 s35, s35, s13
	s_xor_b32 s1, s1, s3
	s_sub_i32 s1, s1, s3
	s_ashr_i32 s48, s47, 31
	s_mul_i32 s3, s47, s8
	s_ashr_i32 s56, s35, 31
	s_ashr_i32 s7, s6, 31
	s_mul_hi_i32 s2, s47, s8
	s_add_u32 s8, s3, s6
	s_addc_u32 s2, s2, s7
	s_mul_i32 s7, s10, s9
	s_mul_hi_i32 s3, s10, s9
	s_mul_hi_u32 s9, s7, s35
	s_mul_i32 s40, s7, s56
	s_load_dwordx8 s[24:31], s[4:5], 0x0
	s_add_i32 s9, s9, s40
	s_mul_i32 s3, s3, s35
	s_mul_i32 s7, s7, s35
	s_add_i32 s3, s9, s3
	s_mul_i32 s2, s7, s2
	s_mul_hi_u32 s9, s7, s8
	s_add_i32 s2, s9, s2
	s_mul_i32 s3, s3, s8
	s_add_i32 s3, s2, s3
	s_mul_i32 s2, s7, s8
	s_load_dwordx4 s[36:39], s[4:5], 0xf8
	s_load_dword s46, s[4:5], 0x11c
	s_ashr_i32 s7, s13, 31
	s_lshl_b64 s[2:3], s[2:3], 1
	s_mul_hi_i32 s9, s1, s13
	s_mul_i32 s8, s1, s13
	s_waitcnt lgkmcnt(0)
	s_add_u32 s24, s24, s2
	s_addc_u32 s25, s25, s3
	s_lshl_b64 s[2:3], s[8:9], 1
	s_add_u32 s57, s24, s2
	s_addc_u32 s58, s25, s3
	s_ashr_i32 s49, s38, 31
	s_ashr_i32 s50, s14, 31
	;; [unrolled: 1-line block ×4, first 2 shown]
	s_cmp_lt_i32 s38, 1
	s_cselect_b64 s[8:9], -1, 0
	s_add_i32 s23, s6, s23
	s_cmp_gt_i32 s39, 0
	s_cselect_b64 s[24:25], -1, 0
	s_cmp_gt_i32 s34, 0
	s_cselect_b64 s[40:41], -1, 0
	s_cmp_gt_i32 s12, 0
	s_cselect_b64 s[42:43], -1, 0
	s_abs_i32 s61, s17
	v_cvt_f32_u32_e32 v1, s61
	s_load_dwordx2 s[2:3], s[4:5], 0x20
	v_cmp_neq_f64_e64 s[4:5], s[28:29], 1.0
	v_cmp_neq_f64_e64 s[44:45], s[30:31], 0
	v_rcp_iflag_f32_e32 v1, v1
	s_abs_i32 s66, s13
	s_abs_i32 s65, s0
	s_abs_i32 s67, s10
	v_mul_f32_e32 v1, 0x4f7ffffe, v1
	v_cvt_u32_f32_e32 v1, v1
	s_abs_i32 s70, s18
	s_or_b64 s[44:45], s[4:5], s[44:45]
	s_sub_i32 s4, 0, s61
	v_readfirstlane_b32 s5, v1
	v_cvt_f32_u32_e32 v1, s66
	s_mul_i32 s4, s4, s5
	s_mul_hi_u32 s4, s5, s4
	s_abs_i32 s72, s19
	s_add_i32 s62, s5, s4
	s_mul_hi_i32 s5, s12, s1
	s_mul_i32 s4, s12, s1
	v_rcp_iflag_f32_e32 v1, v1
	v_cvt_f32_u32_e32 v2, s67
	v_cvt_f32_u32_e32 v3, s65
	;; [unrolled: 1-line block ×4, first 2 shown]
	s_and_b32 s63, s46, 0xffff
	s_ashr_i32 s64, s0, 31
	s_sub_i32 s6, 0, s66
	s_sub_i32 s46, 0, s67
	s_sub_i32 s52, 0, s65
	s_ashr_i32 s68, s17, 31
	s_ashr_i32 s69, s18, 31
	s_sub_i32 s17, 0, s70
	s_ashr_i32 s71, s19, 31
	s_sub_i32 s53, 0, s72
	s_lshl_b64 s[0:1], s[4:5], 1
	s_waitcnt lgkmcnt(0)
	s_add_u32 s18, s2, s0
	s_mul_i32 s0, s16, s15
	s_addc_u32 s19, s3, s1
	s_mul_i32 s1, s0, s50
	s_mul_hi_u32 s2, s0, s14
	s_add_i32 s1, s2, s1
	s_mul_hi_i32 s2, s16, s15
	v_mul_f32_e32 v1, 0x4f7ffffe, v1
	v_rcp_iflag_f32_e32 v2, v2
	v_rcp_iflag_f32_e32 v3, v3
	;; [unrolled: 1-line block ×4, first 2 shown]
	s_mul_i32 s2, s2, s14
	s_mul_i32 s0, s0, s14
	v_cvt_u32_f32_e32 v1, v1
	s_add_i32 s1, s1, s2
	s_mul_i32 s2, s0, s48
	s_mul_hi_u32 s3, s0, s47
	s_add_i32 s2, s3, s2
	s_mul_i32 s1, s1, s47
	s_add_i32 s1, s2, s1
	s_mul_i32 s2, s34, s39
	v_mul_f32_e32 v2, 0x4f7ffffe, v2
	v_mul_f32_e32 v3, 0x4f7ffffe, v3
	;; [unrolled: 1-line block ×4, first 2 shown]
	s_mul_i32 s0, s0, s47
	s_mul_i32 s3, s2, s7
	s_mul_hi_u32 s47, s2, s13
	v_mul_lo_u32 v4, s6, v1
	v_cvt_u32_f32_e32 v2, v2
	v_cvt_u32_f32_e32 v3, v3
	;; [unrolled: 1-line block ×4, first 2 shown]
	s_add_i32 s3, s47, s3
	s_mul_hi_i32 s47, s34, s39
	s_mul_i32 s47, s47, s13
	s_mul_i32 s2, s2, s13
	s_add_i32 s3, s3, s47
	s_mul_i32 s47, s2, s49
	s_mul_hi_u32 s48, s2, s38
	s_add_i32 s47, s48, s47
	s_mul_i32 s48, s3, s38
	v_mul_lo_u32 v7, s46, v2
	v_mul_lo_u32 v8, s52, v3
	;; [unrolled: 1-line block ×4, first 2 shown]
	v_mul_hi_u32 v4, v1, v4
	s_add_i32 s51, s47, s48
	s_mul_i32 s50, s2, s38
	s_mul_i32 s47, s4, s51
	s_mul_hi_u32 s48, s4, s50
	s_add_i32 s47, s48, s47
	s_mul_i32 s5, s5, s50
	s_add_i32 s5, s47, s5
	s_mul_i32 s4, s4, s50
	v_add_u32_e32 v18, v1, v4
	v_mul_hi_u32 v1, v2, v7
	v_mul_hi_u32 v4, v3, v8
	;; [unrolled: 1-line block ×4, first 2 shown]
	s_lshl_b64 s[46:47], s[0:1], 1
	s_lshl_b64 s[0:1], s[4:5], 1
	s_add_u32 s73, s26, s0
	s_addc_u32 s74, s27, s1
	s_mov_b32 s6, s13
	s_mul_hi_i32 s1, s34, s13
	s_mul_i32 s0, s34, s13
	v_add_u32_e32 v19, v2, v1
	v_add_u32_e32 v20, v3, v4
	;; [unrolled: 1-line block ×4, first 2 shown]
	s_lshl_b64 s[26:27], s[2:3], 1
	s_lshl_b64 s[48:49], s[0:1], 1
	;; [unrolled: 1-line block ×3, first 2 shown]
	v_mov_b32_e32 v23, 0
	s_mov_b32 s13, s39
	s_mov_b32 s39, s16
	;; [unrolled: 1-line block ×3, first 2 shown]
	s_mov_b64 s[16:17], 0
	s_lshl_b64 s[52:53], s[6:7], 1
	s_branch .LBB78_3
.LBB78_2:                               ;   in Loop: Header=BB78_3 Depth=1
	v_add_u32_e32 v0, s63, v0
	v_cmp_le_i32_e32 vcc, s11, v0
	s_or_b64 s[16:17], vcc, s[16:17]
	s_andn2_b64 exec, exec, s[16:17]
	s_cbranch_execz .LBB78_37
.LBB78_3:                               ; =>This Loop Header: Depth=1
                                        ;     Child Loop BB78_8 Depth 2
                                        ;       Child Loop BB78_17 Depth 3
                                        ;         Child Loop BB78_24 Depth 4
                                        ;           Child Loop BB78_31 Depth 5
	v_sub_u32_e32 v1, 0, v0
	v_max_i32_e32 v2, v0, v1
	v_mul_hi_u32 v1, v2, v18
	v_ashrrev_i32_e32 v3, 31, v0
	v_xor_b32_e32 v5, s7, v3
	s_mov_b64 s[54:55], -1
	v_mul_lo_u32 v4, v1, s66
	v_add_u32_e32 v6, 1, v1
	v_sub_u32_e32 v4, v2, v4
	v_cmp_le_u32_e32 vcc, s66, v4
	v_cndmask_b32_e32 v1, v1, v6, vcc
	v_subrev_u32_e32 v6, s66, v4
	v_cndmask_b32_e32 v4, v4, v6, vcc
	v_add_u32_e32 v6, 1, v1
	v_cmp_le_u32_e32 vcc, s66, v4
	v_cndmask_b32_e32 v1, v1, v6, vcc
	v_xor_b32_e32 v1, v1, v5
	v_sub_u32_e32 v4, v1, v5
	v_sub_u32_e32 v1, 0, v4
	v_max_i32_e32 v5, v4, v1
	v_mul_hi_u32 v1, v5, v19
	v_mul_hi_u32 v6, v2, v20
	v_mul_lo_u32 v7, v4, s6
	v_mul_lo_u32 v8, v1, s67
	;; [unrolled: 1-line block ×3, first 2 shown]
	v_sub_u32_e32 v1, v0, v7
	v_sub_u32_e32 v5, v5, v8
	v_subrev_u32_e32 v7, s67, v5
	v_cmp_le_u32_e32 vcc, s67, v5
	v_sub_u32_e32 v2, v2, v9
	v_cndmask_b32_e32 v5, v5, v7, vcc
	v_subrev_u32_e32 v7, s65, v2
	v_cmp_le_u32_e64 s[0:1], s65, v2
	v_cndmask_b32_e64 v2, v2, v7, s[0:1]
	v_cmp_le_u32_e64 s[4:5], s67, v5
	v_cmp_le_u32_e64 s[2:3], s65, v2
	s_andn2_b64 vcc, exec, s[8:9]
	s_cbranch_vccnz .LBB78_5
; %bb.4:                                ;   in Loop: Header=BB78_3 Depth=1
	v_ashrrev_i32_e32 v2, 31, v1
	s_mov_b64 s[54:55], 0
.LBB78_5:                               ;   in Loop: Header=BB78_3 Depth=1
	v_subrev_u32_e32 v7, s67, v5
	v_ashrrev_i32_e32 v4, 31, v4
	v_cndmask_b32_e64 v5, v5, v7, s[4:5]
	v_xor_b32_e32 v7, s64, v3
	v_add_u32_e32 v3, 1, v6
	v_xor_b32_e32 v5, v5, v4
	v_cndmask_b32_e64 v3, v6, v3, s[0:1]
	v_sub_u32_e32 v5, v5, v4
	v_add_u32_e32 v4, 1, v3
	v_cndmask_b32_e64 v3, v3, v4, s[2:3]
	v_xor_b32_e32 v6, v3, v7
	v_mov_b32_e32 v3, 0
	v_mov_b32_e32 v4, 0
	s_andn2_b64 vcc, exec, s[54:55]
	v_sub_u32_e32 v24, v6, v7
	s_cbranch_vccnz .LBB78_33
; %bb.6:                                ;   in Loop: Header=BB78_3 Depth=1
	v_ashrrev_i32_e32 v2, 31, v1
	v_lshlrev_b64 v[3:4], 1, v[1:2]
	v_mov_b32_e32 v7, s74
	v_add_co_u32_e32 v6, vcc, s73, v3
	v_addc_co_u32_e32 v7, vcc, v7, v4, vcc
	v_mov_b32_e32 v3, 0
	v_add_u32_e32 v25, s36, v24
	v_add_u32_e32 v26, s37, v5
	v_mov_b32_e32 v4, 0
	s_mov_b32 s4, 0
	s_branch .LBB78_8
.LBB78_7:                               ;   in Loop: Header=BB78_8 Depth=2
	s_add_i32 s4, s4, 1
	v_mov_b32_e32 v8, s27
	v_add_co_u32_e32 v6, vcc, s26, v6
	s_cmp_eq_u32 s4, s38
	v_addc_co_u32_e32 v7, vcc, v7, v8, vcc
	s_cbranch_scc1 .LBB78_33
.LBB78_8:                               ;   Parent Loop BB78_3 Depth=1
                                        ; =>  This Loop Header: Depth=2
                                        ;       Child Loop BB78_17 Depth 3
                                        ;         Child Loop BB78_24 Depth 4
                                        ;           Child Loop BB78_31 Depth 5
	s_mul_i32 s0, s20, s4
	s_sub_i32 s77, s23, s0
	s_cmp_gt_i32 s77, -1
	s_cbranch_scc0 .LBB78_10
; %bb.9:                                ;   in Loop: Header=BB78_8 Depth=2
	s_abs_i32 s0, s77
	s_mul_hi_u32 s54, s0, s62
	s_mul_i32 s1, s54, s61
	s_sub_i32 s55, s0, s1
	s_ashr_i32 s5, s77, 31
	s_sub_i32 s76, s55, s61
	s_cmp_ge_u32 s55, s61
	s_cselect_b32 s0, s76, s55
	s_sub_i32 s1, s0, s61
	s_cmp_ge_u32 s0, s61
	s_cselect_b32 s0, s1, s0
	s_xor_b32 s0, s0, s5
	s_sub_i32 s0, s0, s5
	s_cmp_lg_u32 s0, 0
	s_cselect_b64 s[0:1], -1, 0
	s_cbranch_execz .LBB78_11
	s_branch .LBB78_12
.LBB78_10:                              ;   in Loop: Header=BB78_8 Depth=2
	s_mov_b64 s[0:1], 0
                                        ; implicit-def: $sgpr5
                                        ; implicit-def: $sgpr54
                                        ; implicit-def: $sgpr55
                                        ; implicit-def: $sgpr76
.LBB78_11:                              ;   in Loop: Header=BB78_8 Depth=2
	s_abs_i32 s0, s77
	s_mul_hi_u32 s54, s0, s62
	s_mul_i32 s1, s54, s61
	s_sub_i32 s55, s0, s1
	s_ashr_i32 s5, s77, 31
	s_sub_i32 s76, s55, s61
	s_mov_b64 s[0:1], -1
.LBB78_12:                              ;   in Loop: Header=BB78_8 Depth=2
	s_andn2_b64 vcc, exec, s[0:1]
	s_mov_b32 s0, 1
	s_cbranch_vccz .LBB78_14
; %bb.13:                               ;   in Loop: Header=BB78_8 Depth=2
	s_andn2_b64 vcc, exec, s[24:25]
	s_cbranch_vccz .LBB78_15
	s_branch .LBB78_7
.LBB78_14:                              ;   in Loop: Header=BB78_8 Depth=2
	s_mov_b32 s0, 0
	s_andn2_b64 vcc, exec, s[24:25]
	s_cbranch_vccnz .LBB78_7
.LBB78_15:                              ;   in Loop: Header=BB78_8 Depth=2
	s_xor_b32 s1, s5, s68
	s_add_i32 s2, s54, 1
	s_cmp_ge_u32 s55, s61
	s_cselect_b32 s2, s2, s54
	s_cselect_b32 s3, s76, s55
	s_add_i32 s5, s2, 1
	s_cmp_ge_u32 s3, s61
	s_cselect_b32 s2, s5, s2
	s_xor_b32 s2, s2, s1
	s_sub_i32 s1, s2, s1
	s_cmp_lt_i32 s1, s14
	v_mov_b32_e32 v9, v7
	s_mov_b32 s5, 0
	s_cselect_b32 s54, s0, 0
	s_mul_hi_i32 s55, s1, s15
	s_mul_i32 s76, s1, s15
	v_mov_b32_e32 v8, v6
	s_branch .LBB78_17
.LBB78_16:                              ;   in Loop: Header=BB78_17 Depth=3
	s_add_i32 s5, s5, 1
	v_mov_b32_e32 v10, s49
	v_add_co_u32_e32 v8, vcc, s48, v8
	s_cmp_eq_u32 s5, s13
	v_addc_co_u32_e32 v9, vcc, v9, v10, vcc
	s_cbranch_scc1 .LBB78_7
.LBB78_17:                              ;   Parent Loop BB78_3 Depth=1
                                        ;     Parent Loop BB78_8 Depth=2
                                        ; =>    This Loop Header: Depth=3
                                        ;         Child Loop BB78_24 Depth 4
                                        ;           Child Loop BB78_31 Depth 5
	s_mul_i32 s0, s21, s5
	v_subrev_u32_e32 v10, s0, v25
	v_cmp_gt_i32_e64 s[0:1], 0, v10
	v_cmp_lt_i32_e32 vcc, -1, v10
	v_ashrrev_i32_e32 v11, 31, v10
	v_sub_u32_e32 v12, 0, v10
	s_and_saveexec_b64 s[2:3], vcc
	s_cbranch_execnz .LBB78_20
; %bb.18:                               ;   in Loop: Header=BB78_17 Depth=3
	s_or_b64 exec, exec, s[2:3]
	v_mov_b32_e32 v13, 1
	s_and_saveexec_b64 s[2:3], s[0:1]
	s_cbranch_execnz .LBB78_21
.LBB78_19:                              ;   in Loop: Header=BB78_17 Depth=3
	s_or_b64 exec, exec, s[2:3]
	s_andn2_b64 vcc, exec, s[40:41]
	s_cbranch_vccz .LBB78_22
	s_branch .LBB78_16
.LBB78_20:                              ;   in Loop: Header=BB78_17 Depth=3
	v_max_i32_e32 v13, v10, v12
	v_mul_hi_u32 v14, v13, v21
	s_andn2_b64 s[0:1], s[0:1], exec
	v_mul_lo_u32 v14, v14, s70
	v_sub_u32_e32 v13, v13, v14
	v_subrev_u32_e32 v14, s70, v13
	v_cmp_le_u32_e32 vcc, s70, v13
	v_cndmask_b32_e32 v13, v13, v14, vcc
	v_subrev_u32_e32 v14, s70, v13
	v_cmp_le_u32_e32 vcc, s70, v13
	v_cndmask_b32_e32 v13, v13, v14, vcc
	v_xor_b32_e32 v13, v13, v11
	v_sub_u32_e32 v13, v13, v11
	v_cmp_ne_u32_e32 vcc, 0, v13
	s_and_b64 s[78:79], vcc, exec
	s_or_b64 s[0:1], s[0:1], s[78:79]
	s_or_b64 exec, exec, s[2:3]
	v_mov_b32_e32 v13, 1
	s_and_saveexec_b64 s[2:3], s[0:1]
	s_cbranch_execz .LBB78_19
.LBB78_21:                              ;   in Loop: Header=BB78_17 Depth=3
	v_mov_b32_e32 v13, 0
	s_or_b64 exec, exec, s[2:3]
	s_andn2_b64 vcc, exec, s[40:41]
	s_cbranch_vccnz .LBB78_16
.LBB78_22:                              ;   in Loop: Header=BB78_17 Depth=3
	v_max_i32_e32 v10, v10, v12
	v_mul_hi_u32 v12, v10, v21
	v_xor_b32_e32 v11, s69, v11
	s_mov_b32 s77, 0
	v_mul_lo_u32 v14, v12, s70
	v_add_u32_e32 v15, 1, v12
	v_sub_u32_e32 v10, v10, v14
	v_cmp_le_u32_e32 vcc, s70, v10
	v_subrev_u32_e32 v14, s70, v10
	v_cndmask_b32_e32 v12, v12, v15, vcc
	v_cndmask_b32_e32 v10, v10, v14, vcc
	v_add_u32_e32 v14, 1, v12
	v_cmp_le_u32_e32 vcc, s70, v10
	v_cndmask_b32_e32 v10, v12, v14, vcc
	v_xor_b32_e32 v10, v10, v11
	v_sub_u32_e32 v12, v10, v11
	v_ashrrev_i32_e32 v10, 31, v12
	v_mov_b32_e32 v11, s55
	v_add_co_u32_e32 v14, vcc, s76, v12
	v_addc_co_u32_e32 v10, vcc, v11, v10, vcc
	v_mul_lo_u32 v15, v10, s39
	v_mul_lo_u32 v16, v14, s59
	v_mad_u64_u32 v[10:11], s[0:1], v14, s39, 0
	v_cmp_gt_i32_e32 vcc, s15, v12
	v_cndmask_b32_e32 v12, 0, v13, vcc
	v_and_b32_e32 v27, s54, v12
	v_mov_b32_e32 v13, v9
	v_add3_u32 v11, v11, v16, v15
	v_mov_b32_e32 v12, v8
	s_branch .LBB78_24
.LBB78_23:                              ;   in Loop: Header=BB78_24 Depth=4
	s_add_i32 s77, s77, 1
	v_mov_b32_e32 v14, s53
	v_add_co_u32_e32 v12, vcc, s52, v12
	s_cmp_eq_u32 s77, s34
	v_addc_co_u32_e32 v13, vcc, v13, v14, vcc
	s_cbranch_scc1 .LBB78_16
.LBB78_24:                              ;   Parent Loop BB78_3 Depth=1
                                        ;     Parent Loop BB78_8 Depth=2
                                        ;       Parent Loop BB78_17 Depth=3
                                        ; =>      This Loop Header: Depth=4
                                        ;           Child Loop BB78_31 Depth 5
	s_mul_i32 s0, s22, s77
	v_subrev_u32_e32 v14, s0, v26
	v_sub_u32_e32 v16, 0, v14
	v_cmp_gt_i32_e64 s[0:1], 0, v14
	v_cmp_lt_i32_e32 vcc, -1, v14
	v_ashrrev_i32_e32 v15, 31, v14
	v_max_i32_e32 v14, v14, v16
	s_and_saveexec_b64 s[2:3], vcc
	s_cbranch_execnz .LBB78_27
; %bb.25:                               ;   in Loop: Header=BB78_24 Depth=4
	s_or_b64 exec, exec, s[2:3]
	v_mov_b32_e32 v16, 1
	s_and_saveexec_b64 s[2:3], s[0:1]
	s_cbranch_execnz .LBB78_28
.LBB78_26:                              ;   in Loop: Header=BB78_24 Depth=4
	s_or_b64 exec, exec, s[2:3]
	s_andn2_b64 vcc, exec, s[42:43]
	s_cbranch_vccz .LBB78_29
	s_branch .LBB78_23
.LBB78_27:                              ;   in Loop: Header=BB78_24 Depth=4
	v_mul_hi_u32 v16, v14, v22
	s_andn2_b64 s[0:1], s[0:1], exec
	v_mul_lo_u32 v16, v16, s72
	v_sub_u32_e32 v16, v14, v16
	v_subrev_u32_e32 v17, s72, v16
	v_cmp_le_u32_e32 vcc, s72, v16
	v_cndmask_b32_e32 v16, v16, v17, vcc
	v_subrev_u32_e32 v17, s72, v16
	v_cmp_le_u32_e32 vcc, s72, v16
	v_cndmask_b32_e32 v16, v16, v17, vcc
	v_xor_b32_e32 v16, v16, v15
	v_sub_u32_e32 v16, v16, v15
	v_cmp_ne_u32_e32 vcc, 0, v16
	s_and_b64 s[78:79], vcc, exec
	s_or_b64 s[0:1], s[0:1], s[78:79]
	s_or_b64 exec, exec, s[2:3]
	v_mov_b32_e32 v16, 1
	s_and_saveexec_b64 s[2:3], s[0:1]
	s_cbranch_execz .LBB78_26
.LBB78_28:                              ;   in Loop: Header=BB78_24 Depth=4
	v_mov_b32_e32 v16, 0
	s_or_b64 exec, exec, s[2:3]
	s_andn2_b64 vcc, exec, s[42:43]
	s_cbranch_vccnz .LBB78_23
.LBB78_29:                              ;   in Loop: Header=BB78_24 Depth=4
	v_mul_hi_u32 v17, v14, v22
	v_xor_b32_e32 v15, s71, v15
	s_mov_b32 s2, s12
	v_mul_lo_u32 v28, v17, s72
	v_add_u32_e32 v29, 1, v17
	v_sub_u32_e32 v14, v14, v28
	v_cmp_le_u32_e32 vcc, s72, v14
	v_subrev_u32_e32 v28, s72, v14
	v_cndmask_b32_e32 v17, v17, v29, vcc
	v_cndmask_b32_e32 v14, v14, v28, vcc
	v_add_u32_e32 v28, 1, v17
	v_cmp_le_u32_e32 vcc, s72, v14
	v_cndmask_b32_e32 v14, v17, v28, vcc
	v_xor_b32_e32 v14, v14, v15
	v_sub_u32_e32 v14, v14, v15
	v_cmp_gt_i32_e32 vcc, s39, v14
	v_ashrrev_i32_e32 v15, 31, v14
	v_cndmask_b32_e32 v16, 0, v16, vcc
	v_add_co_u32_e32 v14, vcc, v10, v14
	v_addc_co_u32_e32 v15, vcc, v11, v15, vcc
	v_lshlrev_b64 v[14:15], 1, v[14:15]
	v_mov_b32_e32 v17, s47
	v_add_co_u32_e32 v28, vcc, s46, v14
	v_addc_co_u32_e32 v14, vcc, v17, v15, vcc
	v_mul_lo_u32 v17, s33, v14
	v_mov_b32_e32 v14, s18
	v_mov_b32_e32 v15, s19
	v_mul_lo_u32 v29, s60, v28
	v_mad_u64_u32 v[14:15], s[0:1], s33, v28, v[14:15]
	v_and_b32_e32 v16, v27, v16
	v_and_b32_e32 v16, 1, v16
	v_cmp_eq_u32_e32 vcc, 1, v16
	v_add3_u32 v15, v29, v15, v17
	v_mov_b32_e32 v17, v13
	v_mov_b32_e32 v16, v12
	s_branch .LBB78_31
.LBB78_30:                              ;   in Loop: Header=BB78_31 Depth=5
	s_or_b64 exec, exec, s[0:1]
	v_add_co_u32_e64 v14, s[0:1], 2, v14
	v_addc_co_u32_e64 v15, s[0:1], 0, v15, s[0:1]
	s_add_i32 s2, s2, -1
	v_mov_b32_e32 v28, s51
	v_add_co_u32_e64 v16, s[0:1], s50, v16
	s_cmp_eq_u32 s2, 0
	v_addc_co_u32_e64 v17, s[0:1], v17, v28, s[0:1]
	s_cbranch_scc1 .LBB78_23
.LBB78_31:                              ;   Parent Loop BB78_3 Depth=1
                                        ;     Parent Loop BB78_8 Depth=2
                                        ;       Parent Loop BB78_17 Depth=3
                                        ;         Parent Loop BB78_24 Depth=4
                                        ; =>        This Inner Loop Header: Depth=5
	s_and_saveexec_b64 s[0:1], vcc
	s_cbranch_execz .LBB78_30
; %bb.32:                               ;   in Loop: Header=BB78_31 Depth=5
	global_load_ushort v28, v[14:15], off
	global_load_ushort v29, v[16:17], off
	s_waitcnt vmcnt(1)
	v_lshlrev_b32_e32 v30, 16, v28
	s_waitcnt vmcnt(0)
	v_lshlrev_b32_e32 v28, 16, v29
	v_cvt_f64_f32_e32 v[28:29], v28
	v_cvt_f64_f32_e32 v[30:31], v30
	v_fma_f64 v[3:4], v[30:31], v[28:29], v[3:4]
	s_branch .LBB78_30
.LBB78_33:                              ;   in Loop: Header=BB78_3 Depth=1
	v_ashrrev_i32_e32 v6, 31, v5
	v_mad_i64_i32 v[5:6], s[0:1], v24, s10, v[5:6]
	s_and_b64 vcc, exec, s[44:45]
	v_mul_lo_u32 v7, v5, s56
	v_mul_lo_u32 v6, v6, s35
	v_mad_u64_u32 v[1:2], s[0:1], v5, s35, v[1:2]
	s_mov_b64 s[0:1], -1
	v_add3_u32 v2, v6, v2, v7
	s_cbranch_vccz .LBB78_35
; %bb.34:                               ;   in Loop: Header=BB78_3 Depth=1
	v_lshlrev_b64 v[5:6], 1, v[1:2]
	v_mov_b32_e32 v7, s58
	v_add_co_u32_e32 v5, vcc, s57, v5
	v_addc_co_u32_e32 v6, vcc, v7, v6, vcc
	global_load_ushort v7, v[5:6], off
	s_waitcnt vmcnt(0)
	v_lshlrev_b32_e32 v7, 16, v7
	v_cvt_f64_f32_e32 v[7:8], v7
	v_mul_f64 v[7:8], s[30:31], v[7:8]
	v_fma_f64 v[7:8], s[28:29], v[3:4], v[7:8]
	v_cvt_f32_f64_e32 v7, v[7:8]
	v_and_b32_e32 v8, 0x7f800000, v7
	v_cmp_ne_u32_sdwa s[0:1], v7, v23 src0_sel:WORD_0 src1_sel:DWORD
	v_cmp_eq_u32_e32 vcc, s75, v8
	s_and_b64 s[0:1], vcc, s[0:1]
	v_cndmask_b32_e64 v8, 0, 1, s[0:1]
	v_or_b32_sdwa v7, v7, v8 dst_sel:DWORD dst_unused:UNUSED_PAD src0_sel:WORD_1 src1_sel:DWORD
	global_store_short v[5:6], v7, off
	s_mov_b64 s[0:1], 0
.LBB78_35:                              ;   in Loop: Header=BB78_3 Depth=1
	s_andn2_b64 vcc, exec, s[0:1]
	s_cbranch_vccnz .LBB78_2
; %bb.36:                               ;   in Loop: Header=BB78_3 Depth=1
	v_cvt_f32_f64_e32 v3, v[3:4]
	v_lshlrev_b64 v[1:2], 1, v[1:2]
	v_and_b32_e32 v4, 0x7f800000, v3
	v_cmp_ne_u32_sdwa s[0:1], v3, v23 src0_sel:WORD_0 src1_sel:DWORD
	v_cmp_eq_u32_e32 vcc, s75, v4
	s_and_b64 s[0:1], vcc, s[0:1]
	v_cndmask_b32_e64 v4, 0, 1, s[0:1]
	v_or_b32_sdwa v3, v3, v4 dst_sel:DWORD dst_unused:UNUSED_PAD src0_sel:WORD_1 src1_sel:DWORD
	v_mov_b32_e32 v4, s58
	v_add_co_u32_e32 v1, vcc, s57, v1
	v_addc_co_u32_e32 v2, vcc, v4, v2, vcc
	global_store_short v[1:2], v3, off
	s_branch .LBB78_2
.LBB78_37:
	s_endpgm
	.section	.rodata,"a",@progbits
	.p2align	6, 0x0
	.amdhsa_kernel naive_conv_ab_packed_bwd_ndhwc_ushort_double_ushort
		.amdhsa_group_segment_fixed_size 0
		.amdhsa_private_segment_fixed_size 0
		.amdhsa_kernarg_size 528
		.amdhsa_user_sgpr_count 6
		.amdhsa_user_sgpr_private_segment_buffer 1
		.amdhsa_user_sgpr_dispatch_ptr 0
		.amdhsa_user_sgpr_queue_ptr 0
		.amdhsa_user_sgpr_kernarg_segment_ptr 1
		.amdhsa_user_sgpr_dispatch_id 0
		.amdhsa_user_sgpr_flat_scratch_init 0
		.amdhsa_user_sgpr_private_segment_size 0
		.amdhsa_uses_dynamic_stack 0
		.amdhsa_system_sgpr_private_segment_wavefront_offset 0
		.amdhsa_system_sgpr_workgroup_id_x 1
		.amdhsa_system_sgpr_workgroup_id_y 0
		.amdhsa_system_sgpr_workgroup_id_z 0
		.amdhsa_system_sgpr_workgroup_info 0
		.amdhsa_system_vgpr_workitem_id 0
		.amdhsa_next_free_vgpr 32
		.amdhsa_next_free_sgpr 80
		.amdhsa_reserve_vcc 1
		.amdhsa_reserve_flat_scratch 0
		.amdhsa_float_round_mode_32 0
		.amdhsa_float_round_mode_16_64 0
		.amdhsa_float_denorm_mode_32 3
		.amdhsa_float_denorm_mode_16_64 3
		.amdhsa_dx10_clamp 1
		.amdhsa_ieee_mode 1
		.amdhsa_fp16_overflow 0
		.amdhsa_exception_fp_ieee_invalid_op 0
		.amdhsa_exception_fp_denorm_src 0
		.amdhsa_exception_fp_ieee_div_zero 0
		.amdhsa_exception_fp_ieee_overflow 0
		.amdhsa_exception_fp_ieee_underflow 0
		.amdhsa_exception_fp_ieee_inexact 0
		.amdhsa_exception_int_div_zero 0
	.end_amdhsa_kernel
	.text
.Lfunc_end78:
	.size	naive_conv_ab_packed_bwd_ndhwc_ushort_double_ushort, .Lfunc_end78-naive_conv_ab_packed_bwd_ndhwc_ushort_double_ushort
                                        ; -- End function
	.set naive_conv_ab_packed_bwd_ndhwc_ushort_double_ushort.num_vgpr, 32
	.set naive_conv_ab_packed_bwd_ndhwc_ushort_double_ushort.num_agpr, 0
	.set naive_conv_ab_packed_bwd_ndhwc_ushort_double_ushort.numbered_sgpr, 80
	.set naive_conv_ab_packed_bwd_ndhwc_ushort_double_ushort.num_named_barrier, 0
	.set naive_conv_ab_packed_bwd_ndhwc_ushort_double_ushort.private_seg_size, 0
	.set naive_conv_ab_packed_bwd_ndhwc_ushort_double_ushort.uses_vcc, 1
	.set naive_conv_ab_packed_bwd_ndhwc_ushort_double_ushort.uses_flat_scratch, 0
	.set naive_conv_ab_packed_bwd_ndhwc_ushort_double_ushort.has_dyn_sized_stack, 0
	.set naive_conv_ab_packed_bwd_ndhwc_ushort_double_ushort.has_recursion, 0
	.set naive_conv_ab_packed_bwd_ndhwc_ushort_double_ushort.has_indirect_call, 0
	.section	.AMDGPU.csdata,"",@progbits
; Kernel info:
; codeLenInByte = 2816
; TotalNumSgprs: 84
; NumVgprs: 32
; ScratchSize: 0
; MemoryBound: 0
; FloatMode: 240
; IeeeMode: 1
; LDSByteSize: 0 bytes/workgroup (compile time only)
; SGPRBlocks: 10
; VGPRBlocks: 7
; NumSGPRsForWavesPerEU: 84
; NumVGPRsForWavesPerEU: 32
; Occupancy: 8
; WaveLimiterHint : 1
; COMPUTE_PGM_RSRC2:SCRATCH_EN: 0
; COMPUTE_PGM_RSRC2:USER_SGPR: 6
; COMPUTE_PGM_RSRC2:TRAP_HANDLER: 0
; COMPUTE_PGM_RSRC2:TGID_X_EN: 1
; COMPUTE_PGM_RSRC2:TGID_Y_EN: 0
; COMPUTE_PGM_RSRC2:TGID_Z_EN: 0
; COMPUTE_PGM_RSRC2:TIDIG_COMP_CNT: 0
	.text
	.protected	naive_conv_ab_nonpacked_bwd_ndhwc_ushort_double_ushort ; -- Begin function naive_conv_ab_nonpacked_bwd_ndhwc_ushort_double_ushort
	.globl	naive_conv_ab_nonpacked_bwd_ndhwc_ushort_double_ushort
	.p2align	8
	.type	naive_conv_ab_nonpacked_bwd_ndhwc_ushort_double_ushort,@function
naive_conv_ab_nonpacked_bwd_ndhwc_ushort_double_ushort: ; @naive_conv_ab_nonpacked_bwd_ndhwc_ushort_double_ushort
; %bb.0:
	s_load_dwordx16 s[8:23], s[4:5], 0xb8
	s_abs_i32 s0, s6
	s_waitcnt lgkmcnt(0)
	s_abs_i32 s1, s8
	v_cvt_f32_u32_e32 v1, s1
	s_sub_i32 s2, 0, s1
	s_mul_i32 s3, s11, s8
	v_rcp_iflag_f32_e32 v1, v1
	v_mul_f32_e32 v1, 0x4f7ffffe, v1
	v_cvt_u32_f32_e32 v1, v1
	v_readfirstlane_b32 s7, v1
	s_mul_i32 s2, s2, s7
	s_mul_hi_u32 s2, s7, s2
	s_add_i32 s7, s7, s2
	s_mul_hi_u32 s2, s0, s7
	s_mul_i32 s7, s2, s1
	s_sub_i32 s7, s0, s7
	s_add_i32 s24, s2, 1
	s_sub_i32 s25, s7, s1
	s_cmp_ge_u32 s7, s1
	s_cselect_b32 s2, s24, s2
	s_cselect_b32 s7, s25, s7
	s_add_i32 s24, s2, 1
	s_cmp_ge_u32 s7, s1
	s_cselect_b32 s7, s24, s2
	s_abs_i32 s2, s11
	s_abs_i32 s1, s3
	v_cvt_f32_u32_e32 v1, s2
	v_cvt_f32_u32_e32 v2, s1
	s_mul_i32 s11, s13, s10
	s_mul_i32 s33, s11, s9
	v_rcp_iflag_f32_e32 v1, v1
	v_rcp_iflag_f32_e32 v2, v2
	v_cmp_gt_i32_e32 vcc, s33, v0
	v_mul_f32_e32 v1, 0x4f7ffffe, v1
	v_mul_f32_e32 v2, 0x4f7ffffe, v2
	v_cvt_u32_f32_e32 v1, v1
	v_cvt_u32_f32_e32 v2, v2
	v_readfirstlane_b32 s34, v1
	v_readfirstlane_b32 s9, v2
	s_and_saveexec_b64 s[24:25], vcc
	s_cbranch_execz .LBB79_37
; %bb.1:
	s_ashr_i32 s35, s6, 31
	s_ashr_i32 s36, s8, 31
	s_xor_b32 s36, s35, s36
	s_xor_b32 s7, s7, s36
	s_sub_i32 s7, s7, s36
	s_sub_i32 s36, 0, s2
	s_mul_i32 s36, s36, s34
	s_mul_hi_u32 s36, s34, s36
	s_abs_i32 s53, s7
	s_add_i32 s34, s34, s36
	s_mul_hi_u32 s34, s53, s34
	s_sub_i32 s36, 0, s1
	s_ashr_i32 s52, s7, 31
	s_mul_i32 s36, s36, s9
	s_mul_i32 s7, s7, s8
	;; [unrolled: 1-line block ×3, first 2 shown]
	s_mul_hi_u32 s36, s9, s36
	s_sub_i32 s8, s6, s7
	s_sub_i32 s6, s53, s34
	s_ashr_i32 s3, s3, 31
	s_add_i32 s9, s9, s36
	s_sub_i32 s7, s6, s2
	s_cmp_ge_u32 s6, s2
	s_cselect_b32 s6, s7, s6
	s_sub_i32 s7, s6, s2
	s_cmp_ge_u32 s6, s2
	s_cselect_b32 s2, s7, s6
	s_mul_hi_u32 s9, s0, s9
	s_xor_b32 s2, s2, s52
	s_sub_i32 s83, s2, s52
	s_xor_b32 s2, s35, s3
	s_mul_i32 s3, s9, s1
	s_sub_i32 s0, s0, s3
	s_add_i32 s3, s9, 1
	s_sub_i32 s6, s0, s1
	s_cmp_ge_u32 s0, s1
	s_cselect_b32 s3, s3, s9
	s_load_dwordx16 s[36:51], s[4:5], 0x28
	s_cselect_b32 s0, s6, s0
	s_add_i32 s6, s3, 1
	s_cmp_ge_u32 s0, s1
	s_cselect_b32 s0, s6, s3
	s_xor_b32 s0, s0, s2
	s_load_dwordx8 s[24:31], s[4:5], 0x0
	s_sub_i32 s84, s0, s2
	s_ashr_i32 s85, s83, 31
	s_waitcnt lgkmcnt(0)
	s_mul_i32 s0, s46, s85
	s_mul_hi_u32 s1, s46, s83
	s_ashr_i32 s2, s8, 31
	s_ashr_i32 s86, s84, 31
	s_add_i32 s0, s1, s0
	s_mul_i32 s1, s47, s83
	s_mul_i32 s2, s44, s2
	s_mul_hi_u32 s3, s44, s8
	s_mul_i32 s6, s38, s86
	s_mul_hi_u32 s7, s38, s84
	s_add_i32 s1, s0, s1
	s_mul_i32 s0, s46, s83
	s_add_i32 s2, s3, s2
	s_mul_i32 s3, s45, s8
	;; [unrolled: 2-line block ×3, first 2 shown]
	s_add_i32 s3, s2, s3
	s_add_i32 s7, s6, s7
	s_lshl_b64 s[0:1], s[0:1], 1
	s_mul_i32 s2, s44, s8
	s_add_u32 s6, s24, s0
	s_addc_u32 s9, s25, s1
	s_lshl_b64 s[0:1], s[2:3], 1
	s_add_u32 s24, s6, s0
	s_addc_u32 s9, s9, s1
	s_load_dwordx4 s[44:47], s[4:5], 0xf8
	s_load_dwordx4 s[0:3], s[4:5], 0xa8
	s_mul_i32 s6, s38, s84
	s_lshl_b64 s[6:7], s[6:7], 1
	s_add_u32 s68, s24, s6
	s_load_dword s70, s[4:5], 0x108
	s_load_dword s73, s[4:5], 0x11c
	s_addc_u32 s69, s9, s7
	s_waitcnt lgkmcnt(0)
	s_cmp_lt_i32 s46, 1
	s_cselect_b64 s[6:7], -1, 0
	s_add_i32 s23, s8, s23
	s_cmp_gt_i32 s47, 0
	s_cselect_b64 s[8:9], -1, 0
	s_cmp_gt_i32 s70, 0
	s_cselect_b64 s[24:25], -1, 0
	;; [unrolled: 2-line block ×3, first 2 shown]
	s_abs_i32 s71, s17
	v_cvt_f32_u32_e32 v1, s71
	v_cmp_neq_f64_e64 s[38:39], s[28:29], 1.0
	v_cmp_neq_f64_e64 s[52:53], s[30:31], 0
	s_sub_i32 s72, 0, s71
	v_rcp_iflag_f32_e32 v1, v1
	s_abs_i32 s77, s13
	s_abs_i32 s78, s10
	;; [unrolled: 1-line block ×3, first 2 shown]
	v_mul_f32_e32 v1, 0x4f7ffffe, v1
	v_cvt_u32_f32_e32 v1, v1
	s_or_b64 s[38:39], s[38:39], s[52:53]
	s_load_dwordx16 s[52:67], s[4:5], 0x68
	s_abs_i32 s82, s19
	v_readfirstlane_b32 s74, v1
	s_mul_i32 s72, s72, s74
	v_cvt_f32_u32_e32 v1, s77
	s_mul_hi_u32 s72, s74, s72
	s_add_i32 s72, s74, s72
	s_waitcnt lgkmcnt(0)
	s_mul_i32 s74, s58, s86
	s_mul_hi_u32 s75, s58, s84
	s_add_i32 s76, s75, s74
	s_abs_i32 s75, s11
	v_rcp_iflag_f32_e32 v1, v1
	v_cvt_f32_u32_e32 v3, s78
	v_cvt_f32_u32_e32 v5, s75
	;; [unrolled: 1-line block ×4, first 2 shown]
	v_mul_f32_e32 v1, 0x4f7ffffe, v1
	v_rcp_iflag_f32_e32 v3, v3
	v_rcp_iflag_f32_e32 v5, v5
	;; [unrolled: 1-line block ×4, first 2 shown]
	v_cvt_u32_f32_e32 v1, v1
	s_ashr_i32 s74, s11, 31
	s_mul_i32 s11, s59, s84
	s_add_i32 s59, s76, s11
	s_mul_i32 s58, s58, s84
	s_and_b32 s73, s73, 0xffff
	s_lshl_b64 s[58:59], s[58:59], 1
	s_ashr_i32 s76, s13, 31
	s_sub_i32 s87, 0, s77
	s_sub_i32 s88, 0, s78
	;; [unrolled: 1-line block ×3, first 2 shown]
	s_ashr_i32 s17, s17, 31
	s_ashr_i32 s79, s18, 31
	s_sub_i32 s90, 0, s80
	s_ashr_i32 s81, s19, 31
	s_sub_i32 s91, 0, s82
	v_mul_f32_e32 v3, 0x4f7ffffe, v3
	v_mul_f32_e32 v5, 0x4f7ffffe, v5
	;; [unrolled: 1-line block ×4, first 2 shown]
	s_add_u32 s10, s26, s58
	v_mul_lo_u32 v2, s87, v1
	v_cvt_u32_f32_e32 v3, v3
	v_cvt_u32_f32_e32 v5, v5
	;; [unrolled: 1-line block ×4, first 2 shown]
	s_addc_u32 s11, s27, s59
	s_mul_i32 s18, s62, s86
	s_mul_hi_u32 s19, s62, s84
	s_mul_i32 s26, s2, s85
	s_mul_hi_u32 s27, s2, s83
	s_add_i32 s18, s19, s18
	s_mul_i32 s19, s63, s84
	s_add_i32 s26, s27, s26
	s_mul_i32 s3, s3, s83
	;; [unrolled: 2-line block ×4, first 2 shown]
	s_lshl_b64 s[58:59], s[18:19], 1
	s_lshl_b64 s[2:3], s[2:3], 1
	;; [unrolled: 1-line block ×7, first 2 shown]
	v_mul_lo_u32 v4, s88, v3
	v_mul_lo_u32 v6, s89, v5
	;; [unrolled: 1-line block ×4, first 2 shown]
	v_mul_hi_u32 v2, v1, v2
	s_add_u32 s54, s58, s2
	s_addc_u32 s55, s59, s3
	s_load_dwordx2 s[2:3], s[4:5], 0x20
	v_add_u32_e32 v15, v1, v2
	v_mul_hi_u32 v1, v3, v4
	v_mul_hi_u32 v2, v5, v6
	;; [unrolled: 1-line block ×4, first 2 shown]
	s_waitcnt lgkmcnt(0)
	s_add_u32 s83, s2, s54
	s_addc_u32 s84, s3, s55
	s_lshl_b64 s[54:55], s[66:67], 1
	s_lshl_b64 s[56:57], s[64:65], 1
	;; [unrolled: 1-line block ×4, first 2 shown]
	v_add_u32_e32 v16, v3, v1
	v_add_u32_e32 v17, v5, v2
	;; [unrolled: 1-line block ×4, first 2 shown]
	v_mov_b32_e32 v20, 0
	s_mov_b32 s66, 0x7f800000
	s_mov_b64 s[62:63], 0
	s_branch .LBB79_3
.LBB79_2:                               ;   in Loop: Header=BB79_3 Depth=1
	v_add_u32_e32 v0, s73, v0
	v_cmp_le_i32_e32 vcc, s33, v0
	s_or_b64 s[62:63], vcc, s[62:63]
	s_andn2_b64 exec, exec, s[62:63]
	s_cbranch_execz .LBB79_37
.LBB79_3:                               ; =>This Loop Header: Depth=1
                                        ;     Child Loop BB79_8 Depth 2
                                        ;       Child Loop BB79_17 Depth 3
                                        ;         Child Loop BB79_24 Depth 4
                                        ;           Child Loop BB79_31 Depth 5
	v_sub_u32_e32 v1, 0, v0
	v_max_i32_e32 v5, v0, v1
	v_mul_hi_u32 v2, v5, v15
	v_ashrrev_i32_e32 v1, 31, v0
	v_xor_b32_e32 v4, s76, v1
	s_mov_b64 s[64:65], -1
	v_mul_lo_u32 v3, v2, s77
	v_add_u32_e32 v6, 1, v2
                                        ; implicit-def: $vgpr22
	v_sub_u32_e32 v3, v5, v3
	v_cmp_le_u32_e32 vcc, s77, v3
	v_cndmask_b32_e32 v2, v2, v6, vcc
	v_subrev_u32_e32 v6, s77, v3
	v_cndmask_b32_e32 v3, v3, v6, vcc
	v_add_u32_e32 v6, 1, v2
	v_cmp_le_u32_e32 vcc, s77, v3
	v_cndmask_b32_e32 v2, v2, v6, vcc
	v_xor_b32_e32 v2, v2, v4
	v_sub_u32_e32 v2, v2, v4
	v_sub_u32_e32 v3, 0, v2
	v_max_i32_e32 v4, v2, v3
	v_mul_hi_u32 v6, v4, v16
	v_mul_hi_u32 v3, v5, v17
	v_mul_lo_u32 v7, v2, s13
	v_mul_lo_u32 v6, v6, s78
	;; [unrolled: 1-line block ×3, first 2 shown]
	v_sub_u32_e32 v21, v0, v7
	v_sub_u32_e32 v4, v4, v6
	v_subrev_u32_e32 v6, s78, v4
	v_cmp_le_u32_e32 vcc, s78, v4
	v_sub_u32_e32 v5, v5, v8
	v_cndmask_b32_e32 v4, v4, v6, vcc
	v_subrev_u32_e32 v6, s75, v5
	v_cmp_le_u32_e64 s[0:1], s75, v5
	v_cndmask_b32_e64 v5, v5, v6, s[0:1]
	v_cmp_le_u32_e64 s[4:5], s78, v4
	v_cmp_le_u32_e64 s[2:3], s75, v5
	s_andn2_b64 vcc, exec, s[6:7]
	s_cbranch_vccnz .LBB79_5
; %bb.4:                                ;   in Loop: Header=BB79_3 Depth=1
	v_ashrrev_i32_e32 v22, 31, v21
	s_mov_b64 s[64:65], 0
.LBB79_5:                               ;   in Loop: Header=BB79_3 Depth=1
	v_subrev_u32_e32 v5, s78, v4
	v_ashrrev_i32_e32 v2, 31, v2
	v_cndmask_b32_e64 v4, v4, v5, s[4:5]
	v_xor_b32_e32 v4, v4, v2
	v_sub_u32_e32 v23, v4, v2
	v_xor_b32_e32 v4, s74, v1
	v_add_u32_e32 v1, 1, v3
	v_cndmask_b32_e64 v1, v3, v1, s[0:1]
	v_add_u32_e32 v2, 1, v1
	v_cndmask_b32_e64 v1, v1, v2, s[2:3]
	v_xor_b32_e32 v3, v1, v4
	v_mov_b32_e32 v1, 0
	v_mov_b32_e32 v2, 0
	s_andn2_b64 vcc, exec, s[64:65]
	v_sub_u32_e32 v24, v3, v4
	s_cbranch_vccnz .LBB79_33
; %bb.6:                                ;   in Loop: Header=BB79_3 Depth=1
	v_mov_b32_e32 v1, s10
	v_ashrrev_i32_e32 v22, 31, v21
	v_mov_b32_e32 v2, s11
	v_mad_u64_u32 v[3:4], s[0:1], s18, v21, v[1:2]
	v_mul_lo_u32 v1, s19, v21
	v_mul_lo_u32 v2, s18, v22
	v_add_u32_e32 v25, s44, v24
	v_add_u32_e32 v26, s45, v23
	s_mov_b32 s64, 0
	v_add3_u32 v4, v1, v4, v2
	v_mov_b32_e32 v1, 0
	v_mov_b32_e32 v2, 0
	s_branch .LBB79_8
.LBB79_7:                               ;   in Loop: Header=BB79_8 Depth=2
	s_add_i32 s64, s64, 1
	v_mov_b32_e32 v5, s27
	v_add_co_u32_e32 v3, vcc, s26, v3
	s_cmp_eq_u32 s64, s46
	v_addc_co_u32_e32 v4, vcc, v4, v5, vcc
	s_cbranch_scc1 .LBB79_33
.LBB79_8:                               ;   Parent Loop BB79_3 Depth=1
                                        ; =>  This Loop Header: Depth=2
                                        ;       Child Loop BB79_17 Depth 3
                                        ;         Child Loop BB79_24 Depth 4
                                        ;           Child Loop BB79_31 Depth 5
	s_mul_i32 s0, s20, s64
	s_sub_i32 s85, s23, s0
	s_cmp_gt_i32 s85, -1
	s_cbranch_scc0 .LBB79_10
; %bb.9:                                ;   in Loop: Header=BB79_8 Depth=2
	s_abs_i32 s0, s85
	s_mul_hi_u32 s5, s0, s72
	s_mul_i32 s1, s5, s71
	s_sub_i32 s65, s0, s1
	s_ashr_i32 s4, s85, 31
	s_sub_i32 s67, s65, s71
	s_cmp_ge_u32 s65, s71
	s_cselect_b32 s0, s67, s65
	s_sub_i32 s1, s0, s71
	s_cmp_ge_u32 s0, s71
	s_cselect_b32 s0, s1, s0
	s_xor_b32 s0, s0, s4
	s_sub_i32 s0, s0, s4
	s_cmp_lg_u32 s0, 0
	s_cselect_b64 s[0:1], -1, 0
	s_cbranch_execz .LBB79_11
	s_branch .LBB79_12
.LBB79_10:                              ;   in Loop: Header=BB79_8 Depth=2
	s_mov_b64 s[0:1], 0
                                        ; implicit-def: $sgpr4
                                        ; implicit-def: $sgpr5
                                        ; implicit-def: $sgpr65
                                        ; implicit-def: $sgpr67
.LBB79_11:                              ;   in Loop: Header=BB79_8 Depth=2
	s_abs_i32 s0, s85
	s_mul_hi_u32 s5, s0, s72
	s_mul_i32 s1, s5, s71
	s_sub_i32 s65, s0, s1
	s_ashr_i32 s4, s85, 31
	s_sub_i32 s67, s65, s71
	s_mov_b64 s[0:1], -1
.LBB79_12:                              ;   in Loop: Header=BB79_8 Depth=2
	s_andn2_b64 vcc, exec, s[0:1]
	s_mov_b32 s0, 1
	s_cbranch_vccz .LBB79_14
; %bb.13:                               ;   in Loop: Header=BB79_8 Depth=2
	s_andn2_b64 vcc, exec, s[8:9]
	s_cbranch_vccz .LBB79_15
	s_branch .LBB79_7
.LBB79_14:                              ;   in Loop: Header=BB79_8 Depth=2
	s_mov_b32 s0, 0
	s_andn2_b64 vcc, exec, s[8:9]
	s_cbranch_vccnz .LBB79_7
.LBB79_15:                              ;   in Loop: Header=BB79_8 Depth=2
	s_xor_b32 s1, s4, s17
	s_add_i32 s2, s5, 1
	s_cmp_ge_u32 s65, s71
	s_cselect_b32 s2, s2, s5
	s_cselect_b32 s3, s67, s65
	s_add_i32 s4, s2, 1
	s_cmp_ge_u32 s3, s71
	s_cselect_b32 s2, s4, s2
	s_xor_b32 s2, s2, s1
	s_sub_i32 s1, s2, s1
	s_cmp_lt_i32 s1, s14
	s_cselect_b32 s67, s0, 0
	s_ashr_i32 s0, s1, 31
	s_mul_i32 s0, s60, s0
	s_mul_hi_u32 s2, s60, s1
	s_add_i32 s0, s2, s0
	s_mul_i32 s2, s61, s1
	s_add_i32 s0, s0, s2
	s_mul_i32 s1, s60, s1
	s_add_u32 s2, s83, s1
	v_mov_b32_e32 v6, v4
	s_mov_b32 s65, 0
	s_addc_u32 s3, s84, s0
	v_mov_b32_e32 v5, v3
	s_branch .LBB79_17
.LBB79_16:                              ;   in Loop: Header=BB79_17 Depth=3
	s_add_i32 s65, s65, 1
	v_mov_b32_e32 v7, s49
	v_add_co_u32_e32 v5, vcc, s48, v5
	s_cmp_eq_u32 s65, s47
	v_addc_co_u32_e32 v6, vcc, v6, v7, vcc
	s_cbranch_scc1 .LBB79_7
.LBB79_17:                              ;   Parent Loop BB79_3 Depth=1
                                        ;     Parent Loop BB79_8 Depth=2
                                        ; =>    This Loop Header: Depth=3
                                        ;         Child Loop BB79_24 Depth 4
                                        ;           Child Loop BB79_31 Depth 5
	s_mul_i32 s0, s21, s65
	v_subrev_u32_e32 v7, s0, v25
	v_cmp_gt_i32_e64 s[0:1], 0, v7
	v_cmp_lt_i32_e32 vcc, -1, v7
	v_ashrrev_i32_e32 v8, 31, v7
	v_sub_u32_e32 v9, 0, v7
	s_and_saveexec_b64 s[4:5], vcc
	s_cbranch_execnz .LBB79_20
; %bb.18:                               ;   in Loop: Header=BB79_17 Depth=3
	s_or_b64 exec, exec, s[4:5]
	v_mov_b32_e32 v10, 1
	s_and_saveexec_b64 s[4:5], s[0:1]
	s_cbranch_execnz .LBB79_21
.LBB79_19:                              ;   in Loop: Header=BB79_17 Depth=3
	s_or_b64 exec, exec, s[4:5]
	s_andn2_b64 vcc, exec, s[24:25]
	s_cbranch_vccz .LBB79_22
	s_branch .LBB79_16
.LBB79_20:                              ;   in Loop: Header=BB79_17 Depth=3
	v_max_i32_e32 v10, v7, v9
	v_mul_hi_u32 v11, v10, v18
	s_andn2_b64 s[0:1], s[0:1], exec
	v_mul_lo_u32 v11, v11, s80
	v_sub_u32_e32 v10, v10, v11
	v_subrev_u32_e32 v11, s80, v10
	v_cmp_le_u32_e32 vcc, s80, v10
	v_cndmask_b32_e32 v10, v10, v11, vcc
	v_subrev_u32_e32 v11, s80, v10
	v_cmp_le_u32_e32 vcc, s80, v10
	v_cndmask_b32_e32 v10, v10, v11, vcc
	v_xor_b32_e32 v10, v10, v8
	v_sub_u32_e32 v10, v10, v8
	v_cmp_ne_u32_e32 vcc, 0, v10
	s_and_b64 s[86:87], vcc, exec
	s_or_b64 s[0:1], s[0:1], s[86:87]
	s_or_b64 exec, exec, s[4:5]
	v_mov_b32_e32 v10, 1
	s_and_saveexec_b64 s[4:5], s[0:1]
	s_cbranch_execz .LBB79_19
.LBB79_21:                              ;   in Loop: Header=BB79_17 Depth=3
	v_mov_b32_e32 v10, 0
	s_or_b64 exec, exec, s[4:5]
	s_andn2_b64 vcc, exec, s[24:25]
	s_cbranch_vccnz .LBB79_16
.LBB79_22:                              ;   in Loop: Header=BB79_17 Depth=3
	v_max_i32_e32 v7, v7, v9
	v_mul_hi_u32 v9, v7, v18
	v_xor_b32_e32 v8, s79, v8
	s_mov_b32 s85, 0
	v_mul_lo_u32 v11, v9, s80
	v_add_u32_e32 v12, 1, v9
	v_sub_u32_e32 v7, v7, v11
	v_cmp_le_u32_e32 vcc, s80, v7
	v_subrev_u32_e32 v11, s80, v7
	v_cndmask_b32_e32 v9, v9, v12, vcc
	v_cndmask_b32_e32 v7, v7, v11, vcc
	v_add_u32_e32 v11, 1, v9
	v_cmp_le_u32_e32 vcc, s80, v7
	v_cndmask_b32_e32 v7, v9, v11, vcc
	v_xor_b32_e32 v7, v7, v8
	v_sub_u32_e32 v9, v7, v8
	v_ashrrev_i32_e32 v7, 31, v9
	v_mul_lo_u32 v11, s54, v7
	v_mov_b32_e32 v8, s3
	v_mov_b32_e32 v7, s2
	v_mul_lo_u32 v12, s55, v9
	v_mad_u64_u32 v[7:8], s[0:1], s54, v9, v[7:8]
	v_cmp_gt_i32_e32 vcc, s15, v9
	v_cndmask_b32_e32 v9, 0, v10, vcc
	v_and_b32_e32 v27, s67, v9
	v_mov_b32_e32 v10, v6
	v_add3_u32 v8, v12, v8, v11
	v_mov_b32_e32 v9, v5
	s_branch .LBB79_24
.LBB79_23:                              ;   in Loop: Header=BB79_24 Depth=4
	s_add_i32 s85, s85, 1
	v_mov_b32_e32 v11, s51
	v_add_co_u32_e32 v9, vcc, s50, v9
	s_cmp_eq_u32 s85, s70
	v_addc_co_u32_e32 v10, vcc, v10, v11, vcc
	s_cbranch_scc1 .LBB79_16
.LBB79_24:                              ;   Parent Loop BB79_3 Depth=1
                                        ;     Parent Loop BB79_8 Depth=2
                                        ;       Parent Loop BB79_17 Depth=3
                                        ; =>      This Loop Header: Depth=4
                                        ;           Child Loop BB79_31 Depth 5
	s_mul_i32 s0, s22, s85
	v_subrev_u32_e32 v11, s0, v26
	v_sub_u32_e32 v13, 0, v11
	v_cmp_gt_i32_e64 s[0:1], 0, v11
	v_cmp_lt_i32_e32 vcc, -1, v11
	v_ashrrev_i32_e32 v12, 31, v11
	v_max_i32_e32 v11, v11, v13
	s_and_saveexec_b64 s[4:5], vcc
	s_cbranch_execnz .LBB79_27
; %bb.25:                               ;   in Loop: Header=BB79_24 Depth=4
	s_or_b64 exec, exec, s[4:5]
	v_mov_b32_e32 v13, 1
	s_and_saveexec_b64 s[4:5], s[0:1]
	s_cbranch_execnz .LBB79_28
.LBB79_26:                              ;   in Loop: Header=BB79_24 Depth=4
	s_or_b64 exec, exec, s[4:5]
	s_andn2_b64 vcc, exec, s[34:35]
	s_cbranch_vccz .LBB79_29
	s_branch .LBB79_23
.LBB79_27:                              ;   in Loop: Header=BB79_24 Depth=4
	v_mul_hi_u32 v13, v11, v19
	s_andn2_b64 s[0:1], s[0:1], exec
	v_mul_lo_u32 v13, v13, s82
	v_sub_u32_e32 v13, v11, v13
	v_subrev_u32_e32 v14, s82, v13
	v_cmp_le_u32_e32 vcc, s82, v13
	v_cndmask_b32_e32 v13, v13, v14, vcc
	v_subrev_u32_e32 v14, s82, v13
	v_cmp_le_u32_e32 vcc, s82, v13
	v_cndmask_b32_e32 v13, v13, v14, vcc
	v_xor_b32_e32 v13, v13, v12
	v_sub_u32_e32 v13, v13, v12
	v_cmp_ne_u32_e32 vcc, 0, v13
	s_and_b64 s[86:87], vcc, exec
	s_or_b64 s[0:1], s[0:1], s[86:87]
	s_or_b64 exec, exec, s[4:5]
	v_mov_b32_e32 v13, 1
	s_and_saveexec_b64 s[4:5], s[0:1]
	s_cbranch_execz .LBB79_26
.LBB79_28:                              ;   in Loop: Header=BB79_24 Depth=4
	v_mov_b32_e32 v13, 0
	s_or_b64 exec, exec, s[4:5]
	s_andn2_b64 vcc, exec, s[34:35]
	s_cbranch_vccnz .LBB79_23
.LBB79_29:                              ;   in Loop: Header=BB79_24 Depth=4
	v_mul_hi_u32 v14, v11, v19
	v_xor_b32_e32 v12, s81, v12
	s_mov_b32 s4, s12
	v_mul_lo_u32 v28, v14, s82
	v_add_u32_e32 v29, 1, v14
	v_sub_u32_e32 v11, v11, v28
	v_cmp_le_u32_e32 vcc, s82, v11
	v_subrev_u32_e32 v28, s82, v11
	v_cndmask_b32_e32 v14, v14, v29, vcc
	v_cndmask_b32_e32 v11, v11, v28, vcc
	v_add_u32_e32 v28, 1, v14
	v_cmp_le_u32_e32 vcc, s82, v11
	v_cndmask_b32_e32 v11, v14, v28, vcc
	v_xor_b32_e32 v11, v11, v12
	v_sub_u32_e32 v11, v11, v12
	v_ashrrev_i32_e32 v12, 31, v11
	v_cmp_gt_i32_e32 vcc, s16, v11
	v_mul_lo_u32 v14, s56, v12
	v_mul_lo_u32 v28, s57, v11
	v_mad_u64_u32 v[11:12], s[0:1], s56, v11, v[7:8]
	v_cndmask_b32_e32 v13, 0, v13, vcc
	v_and_b32_e32 v13, v27, v13
	v_and_b32_e32 v13, 1, v13
	v_cmp_eq_u32_e32 vcc, 1, v13
	v_add3_u32 v12, v28, v12, v14
	v_mov_b32_e32 v14, v10
	v_mov_b32_e32 v13, v9
	s_branch .LBB79_31
.LBB79_30:                              ;   in Loop: Header=BB79_31 Depth=5
	s_or_b64 exec, exec, s[0:1]
	v_mov_b32_e32 v28, s53
	v_add_co_u32_e64 v13, s[0:1], s52, v13
	v_addc_co_u32_e64 v14, s[0:1], v14, v28, s[0:1]
	s_add_i32 s4, s4, -1
	v_mov_b32_e32 v28, s59
	v_add_co_u32_e64 v11, s[0:1], s58, v11
	s_cmp_eq_u32 s4, 0
	v_addc_co_u32_e64 v12, s[0:1], v12, v28, s[0:1]
	s_cbranch_scc1 .LBB79_23
.LBB79_31:                              ;   Parent Loop BB79_3 Depth=1
                                        ;     Parent Loop BB79_8 Depth=2
                                        ;       Parent Loop BB79_17 Depth=3
                                        ;         Parent Loop BB79_24 Depth=4
                                        ; =>        This Inner Loop Header: Depth=5
	s_and_saveexec_b64 s[0:1], vcc
	s_cbranch_execz .LBB79_30
; %bb.32:                               ;   in Loop: Header=BB79_31 Depth=5
	global_load_ushort v28, v[11:12], off
	global_load_ushort v29, v[13:14], off
	s_waitcnt vmcnt(1)
	v_lshlrev_b32_e32 v30, 16, v28
	s_waitcnt vmcnt(0)
	v_lshlrev_b32_e32 v28, 16, v29
	v_cvt_f64_f32_e32 v[28:29], v28
	v_cvt_f64_f32_e32 v[30:31], v30
	v_fma_f64 v[1:2], v[30:31], v[28:29], v[1:2]
	s_branch .LBB79_30
.LBB79_33:                              ;   in Loop: Header=BB79_3 Depth=1
	v_ashrrev_i32_e32 v3, 31, v23
	v_mul_lo_u32 v5, s41, v23
	v_mul_lo_u32 v6, s40, v3
	v_mad_u64_u32 v[3:4], s[0:1], s40, v23, 0
	v_ashrrev_i32_e32 v7, 31, v24
	s_and_b64 vcc, exec, s[38:39]
	v_add3_u32 v4, v4, v6, v5
	v_mad_u64_u32 v[3:4], s[0:1], s42, v24, v[3:4]
	v_mul_lo_u32 v5, s43, v24
	v_mul_lo_u32 v6, s42, v7
	v_add3_u32 v4, v5, v4, v6
	v_mad_u64_u32 v[3:4], s[0:1], v21, s36, v[3:4]
	v_mul_lo_u32 v5, v21, s37
	v_mul_lo_u32 v6, v22, s36
	s_mov_b64 s[0:1], -1
	v_add3_u32 v4, v6, v4, v5
	s_cbranch_vccz .LBB79_35
; %bb.34:                               ;   in Loop: Header=BB79_3 Depth=1
	v_lshlrev_b64 v[5:6], 1, v[3:4]
	v_mov_b32_e32 v7, s69
	v_add_co_u32_e32 v5, vcc, s68, v5
	v_addc_co_u32_e32 v6, vcc, v7, v6, vcc
	global_load_ushort v7, v[5:6], off
	s_waitcnt vmcnt(0)
	v_lshlrev_b32_e32 v7, 16, v7
	v_cvt_f64_f32_e32 v[7:8], v7
	v_mul_f64 v[7:8], s[30:31], v[7:8]
	v_fma_f64 v[7:8], s[28:29], v[1:2], v[7:8]
	v_cvt_f32_f64_e32 v7, v[7:8]
	v_and_b32_e32 v8, 0x7f800000, v7
	v_cmp_ne_u32_sdwa s[0:1], v7, v20 src0_sel:WORD_0 src1_sel:DWORD
	v_cmp_eq_u32_e32 vcc, s66, v8
	s_and_b64 s[0:1], vcc, s[0:1]
	v_cndmask_b32_e64 v8, 0, 1, s[0:1]
	v_or_b32_sdwa v7, v7, v8 dst_sel:DWORD dst_unused:UNUSED_PAD src0_sel:WORD_1 src1_sel:DWORD
	global_store_short v[5:6], v7, off
	s_mov_b64 s[0:1], 0
.LBB79_35:                              ;   in Loop: Header=BB79_3 Depth=1
	s_andn2_b64 vcc, exec, s[0:1]
	s_cbranch_vccnz .LBB79_2
; %bb.36:                               ;   in Loop: Header=BB79_3 Depth=1
	v_cvt_f32_f64_e32 v5, v[1:2]
	v_lshlrev_b64 v[1:2], 1, v[3:4]
	v_mov_b32_e32 v4, s69
	v_and_b32_e32 v3, 0x7f800000, v5
	v_cmp_ne_u32_sdwa s[0:1], v5, v20 src0_sel:WORD_0 src1_sel:DWORD
	v_cmp_eq_u32_e32 vcc, s66, v3
	s_and_b64 s[0:1], vcc, s[0:1]
	v_cndmask_b32_e64 v3, 0, 1, s[0:1]
	v_add_co_u32_e32 v1, vcc, s68, v1
	v_or_b32_sdwa v3, v5, v3 dst_sel:DWORD dst_unused:UNUSED_PAD src0_sel:WORD_1 src1_sel:DWORD
	v_addc_co_u32_e32 v2, vcc, v4, v2, vcc
	global_store_short v[1:2], v3, off
	s_branch .LBB79_2
.LBB79_37:
	s_endpgm
	.section	.rodata,"a",@progbits
	.p2align	6, 0x0
	.amdhsa_kernel naive_conv_ab_nonpacked_bwd_ndhwc_ushort_double_ushort
		.amdhsa_group_segment_fixed_size 0
		.amdhsa_private_segment_fixed_size 0
		.amdhsa_kernarg_size 528
		.amdhsa_user_sgpr_count 6
		.amdhsa_user_sgpr_private_segment_buffer 1
		.amdhsa_user_sgpr_dispatch_ptr 0
		.amdhsa_user_sgpr_queue_ptr 0
		.amdhsa_user_sgpr_kernarg_segment_ptr 1
		.amdhsa_user_sgpr_dispatch_id 0
		.amdhsa_user_sgpr_flat_scratch_init 0
		.amdhsa_user_sgpr_private_segment_size 0
		.amdhsa_uses_dynamic_stack 0
		.amdhsa_system_sgpr_private_segment_wavefront_offset 0
		.amdhsa_system_sgpr_workgroup_id_x 1
		.amdhsa_system_sgpr_workgroup_id_y 0
		.amdhsa_system_sgpr_workgroup_id_z 0
		.amdhsa_system_sgpr_workgroup_info 0
		.amdhsa_system_vgpr_workitem_id 0
		.amdhsa_next_free_vgpr 32
		.amdhsa_next_free_sgpr 92
		.amdhsa_reserve_vcc 1
		.amdhsa_reserve_flat_scratch 0
		.amdhsa_float_round_mode_32 0
		.amdhsa_float_round_mode_16_64 0
		.amdhsa_float_denorm_mode_32 3
		.amdhsa_float_denorm_mode_16_64 3
		.amdhsa_dx10_clamp 1
		.amdhsa_ieee_mode 1
		.amdhsa_fp16_overflow 0
		.amdhsa_exception_fp_ieee_invalid_op 0
		.amdhsa_exception_fp_denorm_src 0
		.amdhsa_exception_fp_ieee_div_zero 0
		.amdhsa_exception_fp_ieee_overflow 0
		.amdhsa_exception_fp_ieee_underflow 0
		.amdhsa_exception_fp_ieee_inexact 0
		.amdhsa_exception_int_div_zero 0
	.end_amdhsa_kernel
	.text
.Lfunc_end79:
	.size	naive_conv_ab_nonpacked_bwd_ndhwc_ushort_double_ushort, .Lfunc_end79-naive_conv_ab_nonpacked_bwd_ndhwc_ushort_double_ushort
                                        ; -- End function
	.set naive_conv_ab_nonpacked_bwd_ndhwc_ushort_double_ushort.num_vgpr, 32
	.set naive_conv_ab_nonpacked_bwd_ndhwc_ushort_double_ushort.num_agpr, 0
	.set naive_conv_ab_nonpacked_bwd_ndhwc_ushort_double_ushort.numbered_sgpr, 92
	.set naive_conv_ab_nonpacked_bwd_ndhwc_ushort_double_ushort.num_named_barrier, 0
	.set naive_conv_ab_nonpacked_bwd_ndhwc_ushort_double_ushort.private_seg_size, 0
	.set naive_conv_ab_nonpacked_bwd_ndhwc_ushort_double_ushort.uses_vcc, 1
	.set naive_conv_ab_nonpacked_bwd_ndhwc_ushort_double_ushort.uses_flat_scratch, 0
	.set naive_conv_ab_nonpacked_bwd_ndhwc_ushort_double_ushort.has_dyn_sized_stack, 0
	.set naive_conv_ab_nonpacked_bwd_ndhwc_ushort_double_ushort.has_recursion, 0
	.set naive_conv_ab_nonpacked_bwd_ndhwc_ushort_double_ushort.has_indirect_call, 0
	.section	.AMDGPU.csdata,"",@progbits
; Kernel info:
; codeLenInByte = 2832
; TotalNumSgprs: 96
; NumVgprs: 32
; ScratchSize: 0
; MemoryBound: 0
; FloatMode: 240
; IeeeMode: 1
; LDSByteSize: 0 bytes/workgroup (compile time only)
; SGPRBlocks: 11
; VGPRBlocks: 7
; NumSGPRsForWavesPerEU: 96
; NumVGPRsForWavesPerEU: 32
; Occupancy: 8
; WaveLimiterHint : 1
; COMPUTE_PGM_RSRC2:SCRATCH_EN: 0
; COMPUTE_PGM_RSRC2:USER_SGPR: 6
; COMPUTE_PGM_RSRC2:TRAP_HANDLER: 0
; COMPUTE_PGM_RSRC2:TGID_X_EN: 1
; COMPUTE_PGM_RSRC2:TGID_Y_EN: 0
; COMPUTE_PGM_RSRC2:TGID_Z_EN: 0
; COMPUTE_PGM_RSRC2:TIDIG_COMP_CNT: 0
	.text
	.protected	naive_conv_ab_packed_wrw_ncdhw_float_double_float ; -- Begin function naive_conv_ab_packed_wrw_ncdhw_float_double_float
	.globl	naive_conv_ab_packed_wrw_ncdhw_float_double_float
	.p2align	8
	.type	naive_conv_ab_packed_wrw_ncdhw_float_double_float,@function
naive_conv_ab_packed_wrw_ncdhw_float_double_float: ; @naive_conv_ab_packed_wrw_ncdhw_float_double_float
; %bb.0:
	s_load_dwordx16 s[8:23], s[4:5], 0xb8
	s_load_dwordx2 s[0:1], s[4:5], 0x108
	s_load_dwordx4 s[36:39], s[4:5], 0xf8
	s_waitcnt lgkmcnt(0)
	s_abs_i32 s3, s12
	v_cvt_f32_u32_e32 v1, s3
	s_mul_i32 s44, s0, s39
	s_mul_i32 s2, s44, s38
	;; [unrolled: 1-line block ×3, first 2 shown]
	v_rcp_iflag_f32_e32 v1, v1
	v_cmp_gt_i32_e32 vcc, s33, v0
	v_mul_f32_e32 v1, 0x4f7ffffe, v1
	v_cvt_u32_f32_e32 v1, v1
	v_readfirstlane_b32 s7, v1
	s_and_saveexec_b64 s[24:25], vcc
	s_cbranch_execz .LBB80_21
; %bb.1:
	s_sub_i32 s41, 0, s3
	s_mul_i32 s41, s41, s7
	s_mul_hi_u32 s41, s7, s41
	s_abs_i32 s40, s6
	s_add_i32 s7, s7, s41
	s_ashr_i32 s34, s6, 31
	s_ashr_i32 s35, s12, 31
	s_mul_hi_u32 s7, s40, s7
	s_xor_b32 s34, s34, s35
	s_mul_i32 s35, s7, s3
	s_sub_i32 s35, s40, s35
	s_add_i32 s40, s7, 1
	s_sub_i32 s41, s35, s3
	s_cmp_ge_u32 s35, s3
	s_cselect_b32 s7, s40, s7
	s_cselect_b32 s35, s41, s35
	s_add_i32 s40, s7, 1
	s_cmp_ge_u32 s35, s3
	s_cselect_b32 s3, s40, s7
	s_ashr_i32 s56, s10, 31
	s_mul_i32 s41, s9, s8
	s_mul_hi_i32 s40, s9, s8
	s_mul_i32 s42, s41, s56
	s_mul_hi_u32 s43, s41, s10
	s_xor_b32 s3, s3, s34
	s_ashr_i32 s7, s13, 31
	s_add_i32 s42, s43, s42
	s_mul_i32 s40, s40, s10
	s_mul_i32 s41, s41, s10
	s_sub_i32 s3, s3, s34
	s_add_i32 s40, s42, s40
	s_mul_i32 s7, s41, s7
	s_mul_hi_u32 s42, s41, s13
	s_mul_i32 s34, s3, s12
	s_add_i32 s7, s42, s7
	s_mul_i32 s40, s40, s13
	s_load_dwordx8 s[24:31], s[4:5], 0x0
	s_sub_i32 s35, s6, s34
	s_ashr_i32 s6, s3, 31
	s_add_i32 s7, s7, s40
	s_mul_i32 s40, s41, s13
	s_mul_i32 s6, s40, s6
	s_mul_hi_u32 s41, s40, s3
	s_mul_i32 s7, s7, s3
	s_add_i32 s6, s41, s6
	s_add_i32 s7, s6, s7
	s_mul_i32 s6, s40, s3
	s_ashr_i32 s54, s8, 31
	s_ashr_i32 s55, s9, 31
	s_lshl_b64 s[6:7], s[6:7], 2
	s_waitcnt lgkmcnt(0)
	s_add_u32 s57, s24, s6
	s_addc_u32 s58, s25, s7
	s_ashr_i32 s59, s38, 31
	s_ashr_i32 s60, s39, 31
	;; [unrolled: 1-line block ×4, first 2 shown]
	s_mul_hi_i32 s3, s3, s12
	s_add_u32 s45, s34, s35
	s_addc_u32 s46, s3, s6
	s_mul_i32 s6, s38, s13
	s_mul_hi_i32 s3, s38, s13
	s_mul_i32 s7, s6, s60
	s_mul_hi_u32 s24, s6, s39
	s_add_i32 s7, s24, s7
	s_mul_i32 s3, s3, s39
	s_mul_i32 s6, s6, s39
	s_add_i32 s3, s7, s3
	s_mul_i32 s7, s6, s61
	s_mul_hi_u32 s24, s6, s0
	s_add_i32 s7, s24, s7
	s_mul_i32 s3, s3, s0
	s_mul_i32 s6, s6, s0
	s_add_i32 s3, s7, s3
	s_mul_i32 s7, s6, s46
	s_mul_hi_u32 s24, s6, s45
	s_add_i32 s7, s24, s7
	s_mul_i32 s3, s3, s45
	s_add_i32 s7, s7, s3
	s_mul_i32 s6, s6, s45
	s_lshl_b64 s[6:7], s[6:7], 2
	s_add_u32 s62, s26, s6
	s_addc_u32 s63, s27, s7
	s_ashr_i32 s47, s14, 31
	s_ashr_i32 s3, s16, 31
	s_cmp_lt_i32 s11, 1
	s_cselect_b64 s[6:7], -1, 0
	s_cmp_gt_i32 s14, 0
	s_cselect_b64 s[24:25], -1, 0
	s_cmp_gt_i32 s15, 0
	;; [unrolled: 2-line block ×3, first 2 shown]
	s_cselect_b64 s[34:35], -1, 0
	s_abs_i32 s72, s39
	v_cvt_f32_u32_e32 v2, s72
	v_cmp_neq_f64_e64 s[40:41], s[28:29], 1.0
	v_cmp_neq_f64_e64 s[42:43], s[30:31], 0
	s_abs_i32 s71, s0
	v_rcp_iflag_f32_e32 v2, v2
	v_cvt_f32_u32_e32 v1, s71
	s_abs_i32 s73, s38
	s_abs_i32 s66, s44
	v_mul_f32_e32 v2, 0x4f7ffffe, v2
	s_abs_i32 s68, s2
	s_or_b64 s[40:41], s[40:41], s[42:43]
	s_mul_i32 s42, s16, s15
	v_cvt_u32_f32_e32 v5, v2
	v_cvt_f32_u32_e32 v2, s73
	s_mul_i32 s48, s42, s14
	v_rcp_iflag_f32_e32 v1, v1
	v_cvt_f32_u32_e32 v4, s66
	v_cvt_f32_u32_e32 v6, s68
	s_mul_i32 s43, s48, s46
	s_mul_hi_u32 s46, s48, s45
	s_add_i32 s46, s46, s43
	s_mul_i32 s43, s42, s47
	s_mul_hi_u32 s47, s42, s14
	s_add_i32 s47, s47, s43
	s_mul_hi_i32 s43, s16, s15
	v_rcp_iflag_f32_e32 v2, v2
	s_mul_i32 s49, s43, s14
	v_mul_f32_e32 v1, 0x4f7ffffe, v1
	v_rcp_iflag_f32_e32 v4, v4
	v_rcp_iflag_f32_e32 v6, v6
	s_add_i32 s49, s47, s49
	v_cvt_u32_f32_e32 v1, v1
	s_mul_i32 s47, s49, s45
	s_load_dword s50, s[4:5], 0x11c
	s_add_i32 s47, s46, s47
	s_mul_i32 s46, s48, s45
	v_mul_f32_e32 v2, 0x4f7ffffe, v2
	s_ashr_i32 s65, s44, 31
	s_lshl_b64 s[44:45], s[46:47], 2
	s_sub_i32 s46, 0, s71
	v_mul_f32_e32 v4, 0x4f7ffffe, v4
	v_cvt_u32_f32_e32 v8, v2
	v_mul_f32_e32 v2, 0x4f7ffffe, v6
	v_mul_lo_u32 v3, s46, v1
	v_cvt_u32_f32_e32 v4, v4
	v_cvt_u32_f32_e32 v6, v2
	s_waitcnt lgkmcnt(0)
	s_and_b32 s64, s50, 0xffff
	s_sub_i32 s47, 0, s72
	s_sub_i32 s50, 0, s66
	;; [unrolled: 1-line block ×4, first 2 shown]
	s_load_dwordx2 s[4:5], s[4:5], 0x20
	v_mul_lo_u32 v7, s47, v5
	v_mul_lo_u32 v9, s50, v4
	v_mul_hi_u32 v2, v1, v3
	v_mul_lo_u32 v3, s51, v8
	v_mul_lo_u32 v10, s52, v6
	s_mul_i32 s69, s1, s13
	s_mul_i32 s1, s1, s12
	s_ashr_i32 s67, s2, 31
	s_ashr_i32 s70, s69, 31
	s_ashr_i32 s2, s1, 31
	v_add_u32_e32 v14, v1, v2
	v_mul_hi_u32 v1, v5, v7
	v_mul_hi_u32 v7, v4, v9
	v_mul_hi_u32 v3, v8, v3
	v_mul_hi_u32 v9, v6, v10
	s_waitcnt lgkmcnt(0)
	s_add_u32 s4, s4, s44
	s_mul_i32 s2, s48, s2
	s_mul_hi_u32 s12, s48, s1
	s_addc_u32 s5, s5, s45
	s_add_i32 s2, s12, s2
	s_mul_i32 s49, s49, s1
	s_add_i32 s13, s2, s49
	s_mul_i32 s12, s48, s1
	s_mov_b32 s2, s16
	s_mov_b32 s74, s0
	v_mov_b32_e32 v2, 0
	v_add_u32_e32 v15, v5, v1
	v_add_u32_e32 v16, v4, v7
	;; [unrolled: 1-line block ×4, first 2 shown]
	s_lshl_b64 s[12:13], s[12:13], 2
	s_lshl_b64 s[42:43], s[42:43], 2
	;; [unrolled: 1-line block ×3, first 2 shown]
	s_mov_b32 s75, s8
	s_mov_b32 s76, s9
	;; [unrolled: 1-line block ×4, first 2 shown]
	s_sub_i32 s37, 0, s37
	s_mov_b64 s[8:9], 0
	s_branch .LBB80_3
.LBB80_2:                               ;   in Loop: Header=BB80_3 Depth=1
	v_cvt_f32_f64_e32 v1, v[3:4]
	v_add_u32_e32 v0, s64, v0
	v_cmp_le_i32_e32 vcc, s33, v0
	s_or_b64 s[8:9], vcc, s[8:9]
	global_store_dword v[5:6], v1, off
	s_andn2_b64 exec, exec, s[8:9]
	s_cbranch_execz .LBB80_21
.LBB80_3:                               ; =>This Loop Header: Depth=1
                                        ;     Child Loop BB80_8 Depth 2
                                        ;       Child Loop BB80_11 Depth 3
                                        ;         Child Loop BB80_14 Depth 4
                                        ;           Child Loop BB80_17 Depth 5
	v_sub_u32_e32 v1, 0, v0
	v_max_i32_e32 v5, v0, v1
	v_mul_hi_u32 v1, v5, v14
	v_ashrrev_i32_e32 v6, 31, v0
	v_xor_b32_e32 v4, s61, v6
	s_mov_b64 s[38:39], -1
	v_mul_lo_u32 v3, v1, s71
	v_add_u32_e32 v7, 1, v1
	v_sub_u32_e32 v3, v5, v3
	v_cmp_le_u32_e32 vcc, s71, v3
	v_cndmask_b32_e32 v1, v1, v7, vcc
	v_subrev_u32_e32 v7, s71, v3
	v_cndmask_b32_e32 v3, v3, v7, vcc
	v_add_u32_e32 v7, 1, v1
	v_cmp_le_u32_e32 vcc, s71, v3
	v_cndmask_b32_e32 v1, v1, v7, vcc
	v_xor_b32_e32 v1, v1, v4
	v_sub_u32_e32 v1, v1, v4
	v_mul_hi_u32 v4, v5, v16
	v_sub_u32_e32 v3, 0, v1
	v_max_i32_e32 v7, v1, v3
	v_mul_hi_u32 v3, v7, v15
	v_mul_lo_u32 v8, v4, s66
	v_add_u32_e32 v10, 1, v4
	v_mul_lo_u32 v9, v3, s72
	v_sub_u32_e32 v8, v5, v8
	v_cmp_le_u32_e32 vcc, s66, v8
	v_cndmask_b32_e32 v4, v4, v10, vcc
	v_subrev_u32_e32 v10, s66, v8
	v_cndmask_b32_e32 v8, v8, v10, vcc
	v_add_u32_e32 v10, 1, v4
	v_cmp_le_u32_e32 vcc, s66, v8
	v_xor_b32_e32 v3, s65, v6
	v_cndmask_b32_e32 v4, v4, v10, vcc
	v_xor_b32_e32 v4, v4, v3
	v_sub_u32_e32 v3, v4, v3
	v_sub_u32_e32 v4, 0, v3
	v_max_i32_e32 v8, v3, v4
	v_mul_hi_u32 v4, v8, v17
	v_sub_u32_e32 v7, v7, v9
	v_subrev_u32_e32 v9, s72, v7
	v_cmp_le_u32_e32 vcc, s72, v7
	v_mul_lo_u32 v10, v4, s73
	v_cndmask_b32_e32 v4, v7, v9, vcc
	v_mul_hi_u32 v7, v5, v18
	v_xor_b32_e32 v6, s67, v6
	v_sub_u32_e32 v8, v8, v10
	v_subrev_u32_e32 v9, s73, v8
	v_mul_lo_u32 v10, v7, s68
	v_cmp_le_u32_e32 vcc, s73, v8
	v_cndmask_b32_e32 v9, v8, v9, vcc
	v_add_u32_e32 v8, 1, v7
	v_sub_u32_e32 v5, v5, v10
	v_cmp_le_u32_e32 vcc, s68, v5
	v_cndmask_b32_e32 v7, v7, v8, vcc
	v_subrev_u32_e32 v8, s68, v5
	v_cndmask_b32_e32 v5, v5, v8, vcc
	v_add_u32_e32 v8, 1, v7
	v_cmp_le_u32_e32 vcc, s68, v5
	v_cndmask_b32_e32 v5, v7, v8, vcc
	v_xor_b32_e32 v5, v5, v6
	v_cmp_le_u32_e64 s[0:1], s72, v4
	v_cmp_le_u32_e64 s[2:3], s73, v9
	v_sub_u32_e32 v5, v5, v6
	s_andn2_b64 vcc, exec, s[6:7]
	s_cbranch_vccnz .LBB80_5
; %bb.4:                                ;   in Loop: Header=BB80_3 Depth=1
	v_ashrrev_i32_e32 v6, 31, v5
	s_mov_b64 s[38:39], 0
.LBB80_5:                               ;   in Loop: Header=BB80_3 Depth=1
	v_subrev_u32_e32 v8, s72, v4
	v_mul_lo_u32 v7, v1, s74
	v_ashrrev_i32_e32 v1, 31, v1
	v_cndmask_b32_e64 v4, v4, v8, s[0:1]
	v_xor_b32_e32 v4, v4, v1
	v_sub_u32_e32 v8, v4, v1
	v_ashrrev_i32_e32 v1, 31, v3
	v_subrev_u32_e32 v3, s73, v9
	v_cndmask_b32_e64 v3, v9, v3, s[2:3]
	v_xor_b32_e32 v9, v3, v1
	v_mov_b32_e32 v3, 0
	v_sub_u32_e32 v7, v0, v7
	v_mov_b32_e32 v4, 0
	s_andn2_b64 vcc, exec, s[38:39]
	v_sub_u32_e32 v9, v9, v1
	s_cbranch_vccnz .LBB80_19
; %bb.6:                                ;   in Loop: Header=BB80_3 Depth=1
	v_mul_lo_u32 v1, v7, s22
	v_mul_lo_u32 v19, v9, s20
	;; [unrolled: 1-line block ×3, first 2 shown]
	v_mov_b32_e32 v3, 0
	v_ashrrev_i32_e32 v6, 31, v5
	v_add_u32_e32 v21, s37, v1
	s_mov_b32 s79, 0
	v_mov_b32_e32 v4, 0
	s_mov_b64 s[2:3], s[4:5]
	s_branch .LBB80_8
.LBB80_7:                               ;   in Loop: Header=BB80_8 Depth=2
	s_add_i32 s79, s79, 1
	s_add_u32 s2, s2, s12
	s_addc_u32 s3, s3, s13
	s_cmp_eq_u32 s79, s11
	s_cbranch_scc1 .LBB80_19
.LBB80_8:                               ;   Parent Loop BB80_3 Depth=1
                                        ; =>  This Loop Header: Depth=2
                                        ;       Child Loop BB80_11 Depth 3
                                        ;         Child Loop BB80_14 Depth 4
                                        ;           Child Loop BB80_17 Depth 5
	s_andn2_b64 vcc, exec, s[24:25]
	s_cbranch_vccnz .LBB80_7
; %bb.9:                                ;   in Loop: Header=BB80_8 Depth=2
	v_mov_b32_e32 v1, s69
	v_mad_u64_u32 v[10:11], s[0:1], s79, v1, v[5:6]
	s_mul_i32 s0, s79, s70
	s_mov_b32 s80, 0
	v_add_u32_e32 v1, s0, v11
	v_mul_lo_u32 v12, v10, s54
	v_mad_u64_u32 v[10:11], s[0:1], v10, s75, 0
	v_mul_lo_u32 v1, v1, s75
	s_mov_b64 s[38:39], s[2:3]
	v_add3_u32 v11, v11, v12, v1
	s_branch .LBB80_11
.LBB80_10:                              ;   in Loop: Header=BB80_11 Depth=3
	s_add_i32 s80, s80, 1
	s_add_u32 s38, s38, s42
	s_addc_u32 s39, s39, s43
	s_cmp_eq_u32 s80, s14
	s_cbranch_scc1 .LBB80_7
.LBB80_11:                              ;   Parent Loop BB80_3 Depth=1
                                        ;     Parent Loop BB80_8 Depth=2
                                        ; =>    This Loop Header: Depth=3
                                        ;         Child Loop BB80_14 Depth 4
                                        ;           Child Loop BB80_17 Depth 5
	s_andn2_b64 vcc, exec, s[26:27]
	s_cbranch_vccnz .LBB80_10
; %bb.12:                               ;   in Loop: Header=BB80_11 Depth=3
	s_mul_i32 s0, s80, s17
	s_sub_i32 s0, s0, s23
	v_add_u32_e32 v1, s0, v19
	v_add_co_u32_e32 v12, vcc, v10, v1
	v_addc_co_u32_e32 v13, vcc, 0, v11, vcc
	v_mul_lo_u32 v22, v13, s76
	v_mul_lo_u32 v23, v12, s55
	v_mad_u64_u32 v[12:13], s[0:1], v12, s76, 0
	v_cmp_gt_i32_e32 vcc, 0, v1
	v_cmp_le_i32_e64 s[0:1], s75, v1
	s_mov_b32 s81, 0
	s_or_b64 s[46:47], vcc, s[0:1]
	v_add3_u32 v13, v13, v23, v22
	s_mov_b64 s[48:49], s[38:39]
	s_branch .LBB80_14
.LBB80_13:                              ;   in Loop: Header=BB80_14 Depth=4
	s_add_i32 s81, s81, 1
	s_add_u32 s48, s48, s44
	s_addc_u32 s49, s49, s45
	s_cmp_eq_u32 s81, s15
	s_cbranch_scc1 .LBB80_10
.LBB80_14:                              ;   Parent Loop BB80_3 Depth=1
                                        ;     Parent Loop BB80_8 Depth=2
                                        ;       Parent Loop BB80_11 Depth=3
                                        ; =>      This Loop Header: Depth=4
                                        ;           Child Loop BB80_17 Depth 5
	s_andn2_b64 vcc, exec, s[34:35]
	s_cbranch_vccnz .LBB80_13
; %bb.15:                               ;   in Loop: Header=BB80_14 Depth=4
	s_mul_i32 s0, s81, s18
	s_sub_i32 s0, s0, s36
	v_add_u32_e32 v1, s0, v20
	v_add_co_u32_e64 v22, s[0:1], v12, v1
	v_addc_co_u32_e64 v23, s[0:1], 0, v13, s[0:1]
	v_mul_lo_u32 v24, v23, s10
	v_mul_lo_u32 v25, v22, s56
	v_mad_u64_u32 v[22:23], s[0:1], v22, s10, 0
	v_cmp_gt_i32_e32 vcc, 0, v1
	v_cmp_le_i32_e64 s[0:1], s76, v1
	v_add3_u32 v23, v23, v25, v24
	v_lshlrev_b64 v[22:23], 2, v[22:23]
	s_or_b64 s[0:1], vcc, s[0:1]
	v_mov_b32_e32 v1, s58
	v_add_co_u32_e32 v22, vcc, s57, v22
	s_or_b64 s[50:51], s[46:47], s[0:1]
	v_addc_co_u32_e32 v23, vcc, v1, v23, vcc
	v_mov_b32_e32 v1, v21
	s_mov_b64 s[52:53], s[48:49]
	s_mov_b32 s82, s16
	s_branch .LBB80_17
.LBB80_16:                              ;   in Loop: Header=BB80_17 Depth=5
	s_or_b64 exec, exec, s[0:1]
	s_add_i32 s82, s82, -1
	s_add_u32 s52, s52, 4
	s_addc_u32 s53, s53, 0
	s_cmp_eq_u32 s82, 0
	v_add_u32_e32 v1, s19, v1
	s_cbranch_scc1 .LBB80_13
.LBB80_17:                              ;   Parent Loop BB80_3 Depth=1
                                        ;     Parent Loop BB80_8 Depth=2
                                        ;       Parent Loop BB80_11 Depth=3
                                        ;         Parent Loop BB80_14 Depth=4
                                        ; =>        This Inner Loop Header: Depth=5
	v_cmp_gt_i32_e32 vcc, 0, v1
	v_cmp_le_i32_e64 s[0:1], s10, v1
	s_or_b64 s[0:1], vcc, s[0:1]
	s_nor_b64 s[84:85], s[50:51], s[0:1]
	s_and_saveexec_b64 s[0:1], s[84:85]
	s_cbranch_execz .LBB80_16
; %bb.18:                               ;   in Loop: Header=BB80_17 Depth=5
	v_lshlrev_b64 v[24:25], 2, v[1:2]
	s_load_dword s83, s[52:53], 0x0
	v_add_co_u32_e32 v24, vcc, v22, v24
	v_addc_co_u32_e32 v25, vcc, v23, v25, vcc
	global_load_dword v24, v[24:25], off
	s_waitcnt lgkmcnt(0)
	v_cvt_f64_f32_e32 v[26:27], s83
	s_waitcnt vmcnt(0)
	v_cvt_f64_f32_e32 v[24:25], v24
	v_fma_f64 v[3:4], v[24:25], v[26:27], v[3:4]
	s_branch .LBB80_16
.LBB80_19:                              ;   in Loop: Header=BB80_3 Depth=1
	v_ashrrev_i32_e32 v10, 31, v9
	v_mul_lo_u32 v1, v5, s59
	v_mul_lo_u32 v11, v6, s77
	v_mad_u64_u32 v[5:6], s[0:1], v5, s77, v[9:10]
	v_ashrrev_i32_e32 v9, 31, v8
	v_add3_u32 v1, v11, v6, v1
	v_mul_lo_u32 v1, v1, s78
	v_mad_u64_u32 v[8:9], s[0:1], v5, s78, v[8:9]
	v_mul_lo_u32 v5, v5, s60
	v_add3_u32 v1, v1, v9, v5
	v_mul_lo_u32 v1, v1, s74
	v_mul_lo_u32 v9, v8, s61
	v_mad_u64_u32 v[5:6], s[0:1], v8, s74, 0
	v_ashrrev_i32_e32 v8, 31, v7
	v_add3_u32 v6, v6, v9, v1
	v_lshlrev_b64 v[5:6], 2, v[5:6]
	v_mov_b32_e32 v1, s63
	v_add_co_u32_e32 v9, vcc, s62, v5
	v_addc_co_u32_e32 v1, vcc, v1, v6, vcc
	v_lshlrev_b64 v[5:6], 2, v[7:8]
	s_andn2_b64 vcc, exec, s[40:41]
	v_add_co_u32_e64 v5, s[0:1], v9, v5
	v_addc_co_u32_e64 v6, s[0:1], v1, v6, s[0:1]
	s_cbranch_vccnz .LBB80_2
; %bb.20:                               ;   in Loop: Header=BB80_3 Depth=1
	global_load_dword v1, v[5:6], off
	s_waitcnt vmcnt(0)
	v_cvt_f64_f32_e32 v[7:8], v1
	v_mul_f64 v[7:8], s[30:31], v[7:8]
	v_fma_f64 v[3:4], s[28:29], v[3:4], v[7:8]
	s_branch .LBB80_2
.LBB80_21:
	s_endpgm
	.section	.rodata,"a",@progbits
	.p2align	6, 0x0
	.amdhsa_kernel naive_conv_ab_packed_wrw_ncdhw_float_double_float
		.amdhsa_group_segment_fixed_size 0
		.amdhsa_private_segment_fixed_size 0
		.amdhsa_kernarg_size 528
		.amdhsa_user_sgpr_count 6
		.amdhsa_user_sgpr_private_segment_buffer 1
		.amdhsa_user_sgpr_dispatch_ptr 0
		.amdhsa_user_sgpr_queue_ptr 0
		.amdhsa_user_sgpr_kernarg_segment_ptr 1
		.amdhsa_user_sgpr_dispatch_id 0
		.amdhsa_user_sgpr_flat_scratch_init 0
		.amdhsa_user_sgpr_private_segment_size 0
		.amdhsa_uses_dynamic_stack 0
		.amdhsa_system_sgpr_private_segment_wavefront_offset 0
		.amdhsa_system_sgpr_workgroup_id_x 1
		.amdhsa_system_sgpr_workgroup_id_y 0
		.amdhsa_system_sgpr_workgroup_id_z 0
		.amdhsa_system_sgpr_workgroup_info 0
		.amdhsa_system_vgpr_workitem_id 0
		.amdhsa_next_free_vgpr 28
		.amdhsa_next_free_sgpr 86
		.amdhsa_reserve_vcc 1
		.amdhsa_reserve_flat_scratch 0
		.amdhsa_float_round_mode_32 0
		.amdhsa_float_round_mode_16_64 0
		.amdhsa_float_denorm_mode_32 3
		.amdhsa_float_denorm_mode_16_64 3
		.amdhsa_dx10_clamp 1
		.amdhsa_ieee_mode 1
		.amdhsa_fp16_overflow 0
		.amdhsa_exception_fp_ieee_invalid_op 0
		.amdhsa_exception_fp_denorm_src 0
		.amdhsa_exception_fp_ieee_div_zero 0
		.amdhsa_exception_fp_ieee_overflow 0
		.amdhsa_exception_fp_ieee_underflow 0
		.amdhsa_exception_fp_ieee_inexact 0
		.amdhsa_exception_int_div_zero 0
	.end_amdhsa_kernel
	.text
.Lfunc_end80:
	.size	naive_conv_ab_packed_wrw_ncdhw_float_double_float, .Lfunc_end80-naive_conv_ab_packed_wrw_ncdhw_float_double_float
                                        ; -- End function
	.set naive_conv_ab_packed_wrw_ncdhw_float_double_float.num_vgpr, 28
	.set naive_conv_ab_packed_wrw_ncdhw_float_double_float.num_agpr, 0
	.set naive_conv_ab_packed_wrw_ncdhw_float_double_float.numbered_sgpr, 86
	.set naive_conv_ab_packed_wrw_ncdhw_float_double_float.num_named_barrier, 0
	.set naive_conv_ab_packed_wrw_ncdhw_float_double_float.private_seg_size, 0
	.set naive_conv_ab_packed_wrw_ncdhw_float_double_float.uses_vcc, 1
	.set naive_conv_ab_packed_wrw_ncdhw_float_double_float.uses_flat_scratch, 0
	.set naive_conv_ab_packed_wrw_ncdhw_float_double_float.has_dyn_sized_stack, 0
	.set naive_conv_ab_packed_wrw_ncdhw_float_double_float.has_recursion, 0
	.set naive_conv_ab_packed_wrw_ncdhw_float_double_float.has_indirect_call, 0
	.section	.AMDGPU.csdata,"",@progbits
; Kernel info:
; codeLenInByte = 2056
; TotalNumSgprs: 90
; NumVgprs: 28
; ScratchSize: 0
; MemoryBound: 0
; FloatMode: 240
; IeeeMode: 1
; LDSByteSize: 0 bytes/workgroup (compile time only)
; SGPRBlocks: 11
; VGPRBlocks: 6
; NumSGPRsForWavesPerEU: 90
; NumVGPRsForWavesPerEU: 28
; Occupancy: 8
; WaveLimiterHint : 0
; COMPUTE_PGM_RSRC2:SCRATCH_EN: 0
; COMPUTE_PGM_RSRC2:USER_SGPR: 6
; COMPUTE_PGM_RSRC2:TRAP_HANDLER: 0
; COMPUTE_PGM_RSRC2:TGID_X_EN: 1
; COMPUTE_PGM_RSRC2:TGID_Y_EN: 0
; COMPUTE_PGM_RSRC2:TGID_Z_EN: 0
; COMPUTE_PGM_RSRC2:TIDIG_COMP_CNT: 0
	.text
	.protected	naive_conv_ab_nonpacked_wrw_ncdhw_float_double_float ; -- Begin function naive_conv_ab_nonpacked_wrw_ncdhw_float_double_float
	.globl	naive_conv_ab_nonpacked_wrw_ncdhw_float_double_float
	.p2align	8
	.type	naive_conv_ab_nonpacked_wrw_ncdhw_float_double_float,@function
naive_conv_ab_nonpacked_wrw_ncdhw_float_double_float: ; @naive_conv_ab_nonpacked_wrw_ncdhw_float_double_float
; %bb.0:
	s_load_dwordx16 s[8:23], s[4:5], 0xb8
	s_load_dword s33, s[4:5], 0x108
	s_load_dwordx4 s[68:71], s[4:5], 0xf8
	s_waitcnt lgkmcnt(0)
	s_abs_i32 s0, s12
	v_cvt_f32_u32_e32 v1, s0
	s_mul_i32 s73, s33, s71
	s_mul_i32 s72, s73, s70
	s_mul_i32 s76, s72, s13
	v_rcp_iflag_f32_e32 v1, v1
	v_cmp_gt_i32_e32 vcc, s76, v0
	v_mul_f32_e32 v1, 0x4f7ffffe, v1
	v_cvt_u32_f32_e32 v1, v1
	v_readfirstlane_b32 s1, v1
	s_and_saveexec_b64 s[2:3], vcc
	s_cbranch_execz .LBB81_21
; %bb.1:
	s_sub_i32 s13, 0, s0
	s_mul_i32 s13, s13, s1
	s_mul_hi_u32 s13, s1, s13
	s_abs_i32 s7, s6
	s_add_i32 s1, s1, s13
	s_ashr_i32 s2, s6, 31
	s_ashr_i32 s3, s12, 31
	s_mul_hi_u32 s1, s7, s1
	s_xor_b32 s2, s2, s3
	s_mul_i32 s3, s1, s0
	s_sub_i32 s3, s7, s3
	s_add_i32 s7, s1, 1
	s_sub_i32 s13, s3, s0
	s_cmp_ge_u32 s3, s0
	s_cselect_b32 s1, s7, s1
	s_cselect_b32 s3, s13, s3
	s_add_i32 s7, s1, 1
	s_load_dwordx16 s[36:51], s[4:5], 0x28
	s_cmp_ge_u32 s3, s0
	s_cselect_b32 s0, s7, s1
	s_xor_b32 s0, s0, s2
	s_sub_i32 s7, s0, s2
	s_load_dwordx8 s[24:31], s[4:5], 0x0
	s_mul_i32 s0, s7, s12
	s_ashr_i32 s12, s7, 31
	s_sub_i32 s6, s6, s0
	s_waitcnt lgkmcnt(0)
	s_mul_i32 s0, s44, s12
	s_mul_hi_u32 s1, s44, s7
	s_load_dwordx16 s[52:67], s[4:5], 0x68
	s_add_i32 s0, s1, s0
	s_mul_i32 s1, s45, s7
	s_add_i32 s1, s0, s1
	s_mul_i32 s0, s44, s7
	s_lshl_b64 s[0:1], s[0:1], 2
	s_add_u32 s77, s24, s0
	s_addc_u32 s78, s25, s1
	s_waitcnt lgkmcnt(0)
	s_mul_i32 s0, s58, s12
	s_mul_hi_u32 s1, s58, s7
	s_ashr_i32 s13, s6, 31
	s_add_i32 s0, s1, s0
	s_mul_i32 s1, s56, s13
	s_mul_hi_u32 s2, s56, s6
	s_add_i32 s2, s2, s1
	s_mul_i32 s1, s59, s7
	s_add_i32 s1, s0, s1
	s_mul_i32 s0, s58, s7
	s_mul_i32 s3, s57, s6
	s_add_i32 s3, s2, s3
	s_lshl_b64 s[0:1], s[0:1], 2
	s_add_u32 s24, s26, s0
	s_mul_i32 s2, s56, s6
	s_addc_u32 s25, s27, s1
	s_lshl_b64 s[0:1], s[2:3], 2
	s_add_u32 s79, s24, s0
	s_addc_u32 s80, s25, s1
	s_load_dwordx4 s[0:3], s[4:5], 0xa8
	v_cmp_neq_f64_e64 s[44:45], s[30:31], 0
	s_waitcnt lgkmcnt(0)
	s_mul_i32 s12, s0, s12
	s_mul_hi_u32 s24, s0, s7
	s_add_i32 s12, s24, s12
	s_mul_i32 s1, s1, s7
	s_add_i32 s1, s12, s1
	s_mul_i32 s0, s0, s7
	s_mul_i32 s7, s66, s13
	s_mul_hi_u32 s12, s66, s6
	s_add_i32 s7, s12, s7
	s_mul_i32 s12, s67, s6
	s_add_i32 s7, s7, s12
	s_load_dwordx2 s[12:13], s[4:5], 0x20
	s_lshl_b64 s[0:1], s[0:1], 2
	s_mul_i32 s6, s66, s6
	s_waitcnt lgkmcnt(0)
	s_add_u32 s12, s12, s0
	s_addc_u32 s13, s13, s1
	s_lshl_b64 s[0:1], s[6:7], 2
	s_add_u32 s6, s12, s0
	s_addc_u32 s7, s13, s1
	s_cmp_lt_i32 s11, 1
	s_cselect_b64 s[12:13], -1, 0
	s_cmp_gt_i32 s14, 0
	s_cselect_b64 s[24:25], -1, 0
	s_cmp_gt_i32 s15, 0
	;; [unrolled: 2-line block ×3, first 2 shown]
	s_cselect_b64 s[34:35], -1, 0
	s_abs_i32 s83, s73
	v_cvt_f32_u32_e32 v5, s83
	s_abs_i32 s84, s70
	s_abs_i32 s81, s33
	v_cvt_f32_u32_e32 v1, s81
	v_rcp_iflag_f32_e32 v5, v5
	s_abs_i32 s82, s71
	v_cvt_f32_u32_e32 v3, s82
	v_cmp_neq_f64_e64 s[0:1], s[28:29], 1.0
	v_mul_f32_e32 v5, 0x4f7ffffe, v5
	v_cvt_u32_f32_e32 v7, v5
	v_cvt_f32_u32_e32 v5, s84
	v_rcp_iflag_f32_e32 v1, v1
	s_abs_i32 s85, s72
	v_rcp_iflag_f32_e32 v3, v3
	v_rcp_iflag_f32_e32 v5, v5
	v_mul_f32_e32 v1, 0x4f7ffffe, v1
	v_cvt_u32_f32_e32 v1, v1
	v_mul_f32_e32 v3, 0x4f7ffffe, v3
	v_mul_f32_e32 v5, 0x4f7ffffe, v5
	v_cvt_u32_f32_e32 v9, v5
	v_cvt_f32_u32_e32 v5, s85
	v_cvt_u32_f32_e32 v3, v3
	s_or_b64 s[44:45], s[0:1], s[44:45]
	s_sub_i32 s1, 0, s81
	v_rcp_iflag_f32_e32 v5, v5
	v_mul_lo_u32 v2, s1, v1
	s_sub_i32 s1, 0, s82
	v_mul_lo_u32 v4, s1, v3
	v_mul_f32_e32 v5, 0x4f7ffffe, v5
	v_cvt_u32_f32_e32 v11, v5
	s_sub_i32 s1, 0, s83
	v_mul_lo_u32 v8, s1, v7
	s_sub_i32 s1, 0, s84
	v_mul_lo_u32 v10, s1, v9
	;; [unrolled: 2-line block ×3, first 2 shown]
	v_mul_hi_u32 v2, v1, v2
	v_mul_hi_u32 v4, v3, v4
	s_load_dword s0, s[4:5], 0x11c
	s_lshl_b64 s[56:57], s[2:3], 2
	v_add_u32_e32 v5, v1, v2
	v_add_u32_e32 v6, v3, v4
	v_mul_hi_u32 v1, v7, v8
	v_mul_hi_u32 v2, v9, v10
	;; [unrolled: 1-line block ×3, first 2 shown]
	s_waitcnt lgkmcnt(0)
	s_and_b32 s86, s0, 0xffff
	s_ashr_i32 s87, s73, 31
	v_add_u32_e32 v7, v7, v1
	v_add_u32_e32 v8, v9, v2
	s_ashr_i32 s88, s72, 31
	v_add_u32_e32 v9, v11, v3
	s_ashr_i32 s89, s33, 31
	s_sub_i32 s69, 0, s69
	s_mov_b64 s[4:5], 0
	s_lshl_b64 s[58:59], s[64:65], 2
	s_lshl_b64 s[62:63], s[62:63], 2
	;; [unrolled: 1-line block ×3, first 2 shown]
	s_branch .LBB81_3
.LBB81_2:                               ;   in Loop: Header=BB81_3 Depth=1
	v_cvt_f32_f64_e32 v1, v[1:2]
	v_add_u32_e32 v0, s86, v0
	v_cmp_le_i32_e32 vcc, s76, v0
	s_or_b64 s[4:5], vcc, s[4:5]
	global_store_dword v[3:4], v1, off
	s_andn2_b64 exec, exec, s[4:5]
	s_cbranch_execz .LBB81_21
.LBB81_3:                               ; =>This Loop Header: Depth=1
                                        ;     Child Loop BB81_8 Depth 2
                                        ;       Child Loop BB81_11 Depth 3
                                        ;         Child Loop BB81_14 Depth 4
                                        ;           Child Loop BB81_17 Depth 5
	v_sub_u32_e32 v1, 0, v0
	v_max_i32_e32 v3, v0, v1
	v_mul_hi_u32 v1, v3, v5
	v_ashrrev_i32_e32 v10, 31, v0
	v_xor_b32_e32 v4, s89, v10
	s_mov_b64 s[64:65], -1
	v_mul_lo_u32 v2, v1, s81
	v_add_u32_e32 v11, 1, v1
	v_sub_u32_e32 v2, v3, v2
	v_cmp_le_u32_e32 vcc, s81, v2
	v_cndmask_b32_e32 v1, v1, v11, vcc
	v_subrev_u32_e32 v11, s81, v2
	v_cndmask_b32_e32 v2, v2, v11, vcc
	v_add_u32_e32 v11, 1, v1
	v_cmp_le_u32_e32 vcc, s81, v2
	v_cndmask_b32_e32 v1, v1, v11, vcc
	v_xor_b32_e32 v1, v1, v4
	v_sub_u32_e32 v1, v1, v4
	v_mul_hi_u32 v4, v3, v7
	v_sub_u32_e32 v2, 0, v1
	v_max_i32_e32 v11, v1, v2
	v_mul_hi_u32 v2, v11, v6
	v_mul_lo_u32 v12, v4, s83
	v_add_u32_e32 v14, 1, v4
	v_mul_lo_u32 v13, v2, s82
	v_sub_u32_e32 v12, v3, v12
	v_cmp_le_u32_e32 vcc, s83, v12
	v_cndmask_b32_e32 v4, v4, v14, vcc
	v_subrev_u32_e32 v14, s83, v12
	v_cndmask_b32_e32 v12, v12, v14, vcc
	v_add_u32_e32 v14, 1, v4
	v_cmp_le_u32_e32 vcc, s83, v12
	v_xor_b32_e32 v2, s87, v10
	v_cndmask_b32_e32 v4, v4, v14, vcc
	v_xor_b32_e32 v4, v4, v2
	v_sub_u32_e32 v2, v4, v2
	v_sub_u32_e32 v4, 0, v2
	v_max_i32_e32 v12, v2, v4
	v_mul_hi_u32 v4, v12, v8
	v_sub_u32_e32 v11, v11, v13
	v_subrev_u32_e32 v13, s82, v11
	v_cmp_le_u32_e32 vcc, s82, v11
	v_mul_lo_u32 v14, v4, s84
	v_cndmask_b32_e32 v4, v11, v13, vcc
	v_mul_hi_u32 v11, v3, v9
	v_xor_b32_e32 v10, s88, v10
	v_sub_u32_e32 v12, v12, v14
	v_subrev_u32_e32 v13, s84, v12
	v_mul_lo_u32 v14, v11, s85
	v_cmp_le_u32_e32 vcc, s84, v12
	v_cndmask_b32_e32 v12, v12, v13, vcc
	v_add_u32_e32 v13, 1, v11
	v_sub_u32_e32 v3, v3, v14
	v_cmp_le_u32_e32 vcc, s85, v3
	v_cndmask_b32_e32 v11, v11, v13, vcc
	v_subrev_u32_e32 v13, s85, v3
	v_cndmask_b32_e32 v3, v3, v13, vcc
	v_add_u32_e32 v13, 1, v11
	v_cmp_le_u32_e32 vcc, s85, v3
	v_cndmask_b32_e32 v3, v11, v13, vcc
	v_xor_b32_e32 v3, v3, v10
	v_cmp_le_u32_e64 s[0:1], s82, v4
	v_cmp_le_u32_e64 s[2:3], s84, v12
	v_sub_u32_e32 v3, v3, v10
	s_andn2_b64 vcc, exec, s[12:13]
                                        ; implicit-def: $vgpr10
	s_cbranch_vccnz .LBB81_5
; %bb.4:                                ;   in Loop: Header=BB81_3 Depth=1
	v_ashrrev_i32_e32 v10, 31, v3
	s_mov_b64 s[64:65], 0
.LBB81_5:                               ;   in Loop: Header=BB81_3 Depth=1
	v_mul_lo_u32 v11, v1, s33
	v_subrev_u32_e32 v13, s82, v4
	v_ashrrev_i32_e32 v1, 31, v1
	v_cndmask_b32_e64 v13, v4, v13, s[0:1]
	v_sub_u32_e32 v4, v0, v11
	v_xor_b32_e32 v11, v13, v1
	v_sub_u32_e32 v11, v11, v1
	v_subrev_u32_e32 v1, s84, v12
	v_ashrrev_i32_e32 v13, 31, v2
	v_cndmask_b32_e64 v1, v12, v1, s[2:3]
	v_xor_b32_e32 v12, v1, v13
	v_mov_b32_e32 v1, 0
	v_mov_b32_e32 v2, 0
	s_andn2_b64 vcc, exec, s[64:65]
	v_sub_u32_e32 v12, v12, v13
	s_cbranch_vccnz .LBB81_19
; %bb.6:                                ;   in Loop: Header=BB81_3 Depth=1
	v_ashrrev_i32_e32 v10, 31, v3
	v_mul_lo_u32 v15, s43, v3
	v_mul_lo_u32 v16, s42, v10
	v_mad_u64_u32 v[1:2], s[0:1], s42, v3, 0
	v_mul_lo_u32 v17, v4, s22
	v_mul_lo_u32 v13, v12, s20
	v_add3_u32 v2, v2, v16, v15
	v_lshlrev_b64 v[1:2], 2, v[1:2]
	v_mul_lo_u32 v14, v11, s21
	v_mov_b32_e32 v16, s78
	v_add_co_u32_e32 v15, vcc, s77, v1
	v_addc_co_u32_e32 v16, vcc, v16, v2, vcc
	v_mov_b32_e32 v1, 0
	v_add_u32_e32 v17, s69, v17
	s_mov_b32 s90, 0
	v_mov_b32_e32 v2, 0
	s_mov_b64 s[2:3], s[6:7]
	s_branch .LBB81_8
.LBB81_7:                               ;   in Loop: Header=BB81_8 Depth=2
	s_add_i32 s90, s90, 1
	s_add_u32 s2, s2, s56
	s_addc_u32 s3, s3, s57
	s_cmp_eq_u32 s90, s11
	s_cbranch_scc1 .LBB81_19
.LBB81_8:                               ;   Parent Loop BB81_3 Depth=1
                                        ; =>  This Loop Header: Depth=2
                                        ;       Child Loop BB81_11 Depth 3
                                        ;         Child Loop BB81_14 Depth 4
                                        ;           Child Loop BB81_17 Depth 5
	s_andn2_b64 vcc, exec, s[24:25]
	s_cbranch_vccnz .LBB81_7
; %bb.9:                                ;   in Loop: Header=BB81_8 Depth=2
	s_mul_i32 s0, s47, s90
	s_mul_hi_u32 s1, s46, s90
	s_add_i32 s1, s1, s0
	s_mul_i32 s0, s46, s90
	s_lshl_b64 s[0:1], s[0:1], 2
	v_mov_b32_e32 v19, s1
	v_add_co_u32_e32 v18, vcc, s0, v15
	v_addc_co_u32_e32 v19, vcc, v16, v19, vcc
	s_mov_b32 s91, 0
	s_mov_b64 s[64:65], s[2:3]
	s_branch .LBB81_11
.LBB81_10:                              ;   in Loop: Header=BB81_11 Depth=3
	s_add_i32 s91, s91, 1
	s_add_u32 s64, s64, s58
	s_addc_u32 s65, s65, s59
	s_cmp_eq_u32 s91, s14
	s_cbranch_scc1 .LBB81_7
.LBB81_11:                              ;   Parent Loop BB81_3 Depth=1
                                        ;     Parent Loop BB81_8 Depth=2
                                        ; =>    This Loop Header: Depth=3
                                        ;         Child Loop BB81_14 Depth 4
                                        ;           Child Loop BB81_17 Depth 5
	s_andn2_b64 vcc, exec, s[26:27]
	s_cbranch_vccnz .LBB81_10
; %bb.12:                               ;   in Loop: Header=BB81_11 Depth=3
	s_mul_i32 s0, s91, s17
	s_sub_i32 s0, s0, s23
	v_add_u32_e32 v23, s0, v13
	v_mad_u64_u32 v[20:21], s[0:1], s40, v23, 0
	v_cmp_gt_i32_e32 vcc, 0, v23
	s_mov_b32 s92, 0
	v_mad_u64_u32 v[21:22], s[0:1], s41, v23, v[21:22]
	v_cmp_le_i32_e64 s[0:1], s8, v23
	s_or_b64 s[66:67], vcc, s[0:1]
	v_lshlrev_b64 v[20:21], 2, v[20:21]
	s_mov_b64 s[70:71], s[64:65]
	v_add_co_u32_e32 v20, vcc, v18, v20
	v_addc_co_u32_e32 v21, vcc, v19, v21, vcc
	s_branch .LBB81_14
.LBB81_13:                              ;   in Loop: Header=BB81_14 Depth=4
	s_add_i32 s92, s92, 1
	s_add_u32 s70, s70, s62
	s_addc_u32 s71, s71, s63
	s_cmp_eq_u32 s92, s15
	s_cbranch_scc1 .LBB81_10
.LBB81_14:                              ;   Parent Loop BB81_3 Depth=1
                                        ;     Parent Loop BB81_8 Depth=2
                                        ;       Parent Loop BB81_11 Depth=3
                                        ; =>      This Loop Header: Depth=4
                                        ;           Child Loop BB81_17 Depth 5
	s_andn2_b64 vcc, exec, s[34:35]
	s_cbranch_vccnz .LBB81_13
; %bb.15:                               ;   in Loop: Header=BB81_14 Depth=4
	s_mul_i32 s0, s92, s18
	s_sub_i32 s0, s0, s68
	v_add_u32_e32 v25, s0, v14
	v_mad_u64_u32 v[22:23], s[0:1], s38, v25, 0
	v_cmp_gt_i32_e32 vcc, 0, v25
	s_mov_b64 s[74:75], s[70:71]
	v_mad_u64_u32 v[23:24], s[0:1], s39, v25, v[23:24]
	v_cmp_le_i32_e64 s[0:1], s9, v25
	s_or_b64 s[0:1], vcc, s[0:1]
	v_lshlrev_b64 v[22:23], 2, v[22:23]
	s_or_b64 s[72:73], s[66:67], s[0:1]
	v_add_co_u32_e32 v22, vcc, v20, v22
	v_addc_co_u32_e32 v23, vcc, v21, v23, vcc
	v_mov_b32_e32 v24, v17
	s_mov_b32 s93, s16
	s_branch .LBB81_17
.LBB81_16:                              ;   in Loop: Header=BB81_17 Depth=5
	s_or_b64 exec, exec, s[0:1]
	s_add_i32 s93, s93, -1
	s_add_u32 s74, s74, s60
	s_addc_u32 s75, s75, s61
	s_cmp_eq_u32 s93, 0
	v_add_u32_e32 v24, s19, v24
	s_cbranch_scc1 .LBB81_13
.LBB81_17:                              ;   Parent Loop BB81_3 Depth=1
                                        ;     Parent Loop BB81_8 Depth=2
                                        ;       Parent Loop BB81_11 Depth=3
                                        ;         Parent Loop BB81_14 Depth=4
                                        ; =>        This Inner Loop Header: Depth=5
	v_cmp_gt_i32_e32 vcc, 0, v24
	v_cmp_le_i32_e64 s[0:1], s10, v24
	s_or_b64 s[0:1], vcc, s[0:1]
	s_nor_b64 s[94:95], s[72:73], s[0:1]
	s_and_saveexec_b64 s[0:1], s[94:95]
	s_cbranch_execz .LBB81_16
; %bb.18:                               ;   in Loop: Header=BB81_17 Depth=5
	v_mad_u64_u32 v[25:26], s[94:95], s36, v24, 0
	v_mad_u64_u32 v[26:27], s[94:95], s37, v24, v[26:27]
	s_load_dword s94, s[74:75], 0x0
	v_lshlrev_b64 v[25:26], 2, v[25:26]
	v_add_co_u32_e32 v25, vcc, v22, v25
	v_addc_co_u32_e32 v26, vcc, v23, v26, vcc
	global_load_dword v25, v[25:26], off
	s_waitcnt lgkmcnt(0)
	v_cvt_f64_f32_e32 v[27:28], s94
	s_waitcnt vmcnt(0)
	v_cvt_f64_f32_e32 v[25:26], v25
	v_fma_f64 v[1:2], v[25:26], v[27:28], v[1:2]
	s_branch .LBB81_16
.LBB81_19:                              ;   in Loop: Header=BB81_3 Depth=1
	v_mul_lo_u32 v18, v3, s55
	v_mad_u64_u32 v[13:14], s[0:1], v3, s54, 0
	v_ashrrev_i32_e32 v3, 31, v12
	v_mul_lo_u32 v17, v10, s54
	v_mul_lo_u32 v20, s52, v3
	v_ashrrev_i32_e32 v3, 31, v11
	v_mul_lo_u32 v19, s53, v12
	v_mad_u64_u32 v[15:16], s[0:1], s52, v12, 0
	v_mul_lo_u32 v12, s51, v11
	v_mul_lo_u32 v21, s50, v3
	v_mad_u64_u32 v[10:11], s[0:1], s50, v11, 0
	v_add3_u32 v14, v14, v18, v17
	v_ashrrev_i32_e32 v3, 31, v4
	v_add3_u32 v11, v11, v21, v12
	v_lshlrev_b64 v[12:13], 2, v[13:14]
	v_mul_lo_u32 v22, s49, v4
	v_mul_lo_u32 v23, s48, v3
	v_mad_u64_u32 v[3:4], s[0:1], s48, v4, 0
	v_add3_u32 v16, v16, v20, v19
	v_mov_b32_e32 v14, s80
	v_add_co_u32_e32 v17, vcc, s79, v12
	v_addc_co_u32_e32 v14, vcc, v14, v13, vcc
	v_lshlrev_b64 v[12:13], 2, v[15:16]
	v_add3_u32 v4, v4, v23, v22
	v_add_co_u32_e32 v12, vcc, v17, v12
	v_lshlrev_b64 v[10:11], 2, v[10:11]
	v_addc_co_u32_e32 v13, vcc, v14, v13, vcc
	v_lshlrev_b64 v[3:4], 2, v[3:4]
	v_add_co_u32_e32 v10, vcc, v12, v10
	v_addc_co_u32_e32 v11, vcc, v13, v11, vcc
	v_add_co_u32_e64 v3, s[0:1], v10, v3
	s_andn2_b64 vcc, exec, s[44:45]
	v_addc_co_u32_e64 v4, s[0:1], v11, v4, s[0:1]
	s_cbranch_vccnz .LBB81_2
; %bb.20:                               ;   in Loop: Header=BB81_3 Depth=1
	global_load_dword v10, v[3:4], off
	s_waitcnt vmcnt(0)
	v_cvt_f64_f32_e32 v[10:11], v10
	v_mul_f64 v[10:11], s[30:31], v[10:11]
	v_fma_f64 v[1:2], s[28:29], v[1:2], v[10:11]
	s_branch .LBB81_2
.LBB81_21:
	s_endpgm
	.section	.rodata,"a",@progbits
	.p2align	6, 0x0
	.amdhsa_kernel naive_conv_ab_nonpacked_wrw_ncdhw_float_double_float
		.amdhsa_group_segment_fixed_size 0
		.amdhsa_private_segment_fixed_size 0
		.amdhsa_kernarg_size 528
		.amdhsa_user_sgpr_count 6
		.amdhsa_user_sgpr_private_segment_buffer 1
		.amdhsa_user_sgpr_dispatch_ptr 0
		.amdhsa_user_sgpr_queue_ptr 0
		.amdhsa_user_sgpr_kernarg_segment_ptr 1
		.amdhsa_user_sgpr_dispatch_id 0
		.amdhsa_user_sgpr_flat_scratch_init 0
		.amdhsa_user_sgpr_private_segment_size 0
		.amdhsa_uses_dynamic_stack 0
		.amdhsa_system_sgpr_private_segment_wavefront_offset 0
		.amdhsa_system_sgpr_workgroup_id_x 1
		.amdhsa_system_sgpr_workgroup_id_y 0
		.amdhsa_system_sgpr_workgroup_id_z 0
		.amdhsa_system_sgpr_workgroup_info 0
		.amdhsa_system_vgpr_workitem_id 0
		.amdhsa_next_free_vgpr 29
		.amdhsa_next_free_sgpr 96
		.amdhsa_reserve_vcc 1
		.amdhsa_reserve_flat_scratch 0
		.amdhsa_float_round_mode_32 0
		.amdhsa_float_round_mode_16_64 0
		.amdhsa_float_denorm_mode_32 3
		.amdhsa_float_denorm_mode_16_64 3
		.amdhsa_dx10_clamp 1
		.amdhsa_ieee_mode 1
		.amdhsa_fp16_overflow 0
		.amdhsa_exception_fp_ieee_invalid_op 0
		.amdhsa_exception_fp_denorm_src 0
		.amdhsa_exception_fp_ieee_div_zero 0
		.amdhsa_exception_fp_ieee_overflow 0
		.amdhsa_exception_fp_ieee_underflow 0
		.amdhsa_exception_fp_ieee_inexact 0
		.amdhsa_exception_int_div_zero 0
	.end_amdhsa_kernel
	.text
.Lfunc_end81:
	.size	naive_conv_ab_nonpacked_wrw_ncdhw_float_double_float, .Lfunc_end81-naive_conv_ab_nonpacked_wrw_ncdhw_float_double_float
                                        ; -- End function
	.set naive_conv_ab_nonpacked_wrw_ncdhw_float_double_float.num_vgpr, 29
	.set naive_conv_ab_nonpacked_wrw_ncdhw_float_double_float.num_agpr, 0
	.set naive_conv_ab_nonpacked_wrw_ncdhw_float_double_float.numbered_sgpr, 96
	.set naive_conv_ab_nonpacked_wrw_ncdhw_float_double_float.num_named_barrier, 0
	.set naive_conv_ab_nonpacked_wrw_ncdhw_float_double_float.private_seg_size, 0
	.set naive_conv_ab_nonpacked_wrw_ncdhw_float_double_float.uses_vcc, 1
	.set naive_conv_ab_nonpacked_wrw_ncdhw_float_double_float.uses_flat_scratch, 0
	.set naive_conv_ab_nonpacked_wrw_ncdhw_float_double_float.has_dyn_sized_stack, 0
	.set naive_conv_ab_nonpacked_wrw_ncdhw_float_double_float.has_recursion, 0
	.set naive_conv_ab_nonpacked_wrw_ncdhw_float_double_float.has_indirect_call, 0
	.section	.AMDGPU.csdata,"",@progbits
; Kernel info:
; codeLenInByte = 1976
; TotalNumSgprs: 100
; NumVgprs: 29
; ScratchSize: 0
; MemoryBound: 0
; FloatMode: 240
; IeeeMode: 1
; LDSByteSize: 0 bytes/workgroup (compile time only)
; SGPRBlocks: 12
; VGPRBlocks: 7
; NumSGPRsForWavesPerEU: 100
; NumVGPRsForWavesPerEU: 29
; Occupancy: 8
; WaveLimiterHint : 0
; COMPUTE_PGM_RSRC2:SCRATCH_EN: 0
; COMPUTE_PGM_RSRC2:USER_SGPR: 6
; COMPUTE_PGM_RSRC2:TRAP_HANDLER: 0
; COMPUTE_PGM_RSRC2:TGID_X_EN: 1
; COMPUTE_PGM_RSRC2:TGID_Y_EN: 0
; COMPUTE_PGM_RSRC2:TGID_Z_EN: 0
; COMPUTE_PGM_RSRC2:TIDIG_COMP_CNT: 0
	.text
	.protected	naive_conv_ab_packed_wrw_ncdhw_half_double_half ; -- Begin function naive_conv_ab_packed_wrw_ncdhw_half_double_half
	.globl	naive_conv_ab_packed_wrw_ncdhw_half_double_half
	.p2align	8
	.type	naive_conv_ab_packed_wrw_ncdhw_half_double_half,@function
naive_conv_ab_packed_wrw_ncdhw_half_double_half: ; @naive_conv_ab_packed_wrw_ncdhw_half_double_half
; %bb.0:
	s_load_dwordx16 s[8:23], s[4:5], 0xb8
	s_load_dwordx2 s[0:1], s[4:5], 0x108
	s_load_dwordx4 s[36:39], s[4:5], 0xf8
	s_waitcnt lgkmcnt(0)
	s_abs_i32 s3, s12
	v_cvt_f32_u32_e32 v1, s3
	s_mul_i32 s44, s0, s39
	s_mul_i32 s2, s44, s38
	;; [unrolled: 1-line block ×3, first 2 shown]
	v_rcp_iflag_f32_e32 v1, v1
	v_cmp_gt_i32_e32 vcc, s33, v0
	v_mul_f32_e32 v1, 0x4f7ffffe, v1
	v_cvt_u32_f32_e32 v1, v1
	v_readfirstlane_b32 s7, v1
	s_and_saveexec_b64 s[24:25], vcc
	s_cbranch_execz .LBB82_23
; %bb.1:
	s_sub_i32 s41, 0, s3
	s_mul_i32 s41, s41, s7
	s_mul_hi_u32 s41, s7, s41
	s_abs_i32 s40, s6
	s_add_i32 s7, s7, s41
	s_ashr_i32 s34, s6, 31
	s_ashr_i32 s35, s12, 31
	s_mul_hi_u32 s7, s40, s7
	s_xor_b32 s34, s34, s35
	s_mul_i32 s35, s7, s3
	s_sub_i32 s35, s40, s35
	s_add_i32 s40, s7, 1
	s_sub_i32 s41, s35, s3
	s_cmp_ge_u32 s35, s3
	s_cselect_b32 s7, s40, s7
	s_cselect_b32 s35, s41, s35
	s_add_i32 s40, s7, 1
	s_cmp_ge_u32 s35, s3
	s_cselect_b32 s3, s40, s7
	s_ashr_i32 s56, s10, 31
	s_mul_i32 s41, s9, s8
	s_mul_hi_i32 s40, s9, s8
	s_mul_i32 s42, s41, s56
	s_mul_hi_u32 s43, s41, s10
	s_xor_b32 s3, s3, s34
	s_ashr_i32 s7, s13, 31
	s_add_i32 s42, s43, s42
	s_mul_i32 s40, s40, s10
	s_mul_i32 s41, s41, s10
	s_sub_i32 s3, s3, s34
	s_add_i32 s40, s42, s40
	s_mul_i32 s7, s41, s7
	s_mul_hi_u32 s42, s41, s13
	s_mul_i32 s34, s3, s12
	s_add_i32 s7, s42, s7
	s_mul_i32 s40, s40, s13
	s_load_dwordx8 s[24:31], s[4:5], 0x0
	s_sub_i32 s35, s6, s34
	s_ashr_i32 s6, s3, 31
	s_add_i32 s7, s7, s40
	s_mul_i32 s40, s41, s13
	s_mul_i32 s6, s40, s6
	s_mul_hi_u32 s41, s40, s3
	s_mul_i32 s7, s7, s3
	s_add_i32 s6, s41, s6
	s_add_i32 s7, s6, s7
	s_mul_i32 s6, s40, s3
	s_ashr_i32 s54, s8, 31
	s_ashr_i32 s55, s9, 31
	s_lshl_b64 s[6:7], s[6:7], 1
	s_waitcnt lgkmcnt(0)
	s_add_u32 s57, s24, s6
	s_addc_u32 s58, s25, s7
	s_ashr_i32 s59, s38, 31
	s_ashr_i32 s60, s39, 31
	;; [unrolled: 1-line block ×4, first 2 shown]
	s_mul_hi_i32 s3, s3, s12
	s_add_u32 s45, s34, s35
	s_addc_u32 s46, s3, s6
	s_mul_i32 s6, s38, s13
	s_mul_hi_i32 s3, s38, s13
	s_mul_i32 s7, s6, s60
	s_mul_hi_u32 s24, s6, s39
	s_add_i32 s7, s24, s7
	s_mul_i32 s3, s3, s39
	s_mul_i32 s6, s6, s39
	s_add_i32 s3, s7, s3
	s_mul_i32 s7, s6, s61
	s_mul_hi_u32 s24, s6, s0
	s_add_i32 s7, s24, s7
	s_mul_i32 s3, s3, s0
	s_mul_i32 s6, s6, s0
	s_add_i32 s3, s7, s3
	s_mul_i32 s7, s6, s46
	s_mul_hi_u32 s24, s6, s45
	s_add_i32 s7, s24, s7
	s_mul_i32 s3, s3, s45
	s_add_i32 s7, s7, s3
	s_mul_i32 s6, s6, s45
	s_lshl_b64 s[6:7], s[6:7], 1
	s_add_u32 s62, s26, s6
	s_addc_u32 s63, s27, s7
	s_ashr_i32 s47, s14, 31
	s_ashr_i32 s3, s16, 31
	s_cmp_lt_i32 s11, 1
	s_cselect_b64 s[6:7], -1, 0
	s_cmp_gt_i32 s14, 0
	s_cselect_b64 s[24:25], -1, 0
	s_cmp_gt_i32 s15, 0
	;; [unrolled: 2-line block ×3, first 2 shown]
	s_cselect_b64 s[34:35], -1, 0
	s_abs_i32 s72, s39
	v_cvt_f32_u32_e32 v2, s72
	v_cmp_neq_f64_e64 s[40:41], s[28:29], 1.0
	v_cmp_neq_f64_e64 s[42:43], s[30:31], 0
	s_abs_i32 s71, s0
	v_rcp_iflag_f32_e32 v2, v2
	v_cvt_f32_u32_e32 v1, s71
	s_abs_i32 s73, s38
	s_abs_i32 s66, s44
	v_mul_f32_e32 v2, 0x4f7ffffe, v2
	s_abs_i32 s68, s2
	s_or_b64 s[40:41], s[40:41], s[42:43]
	s_mul_i32 s42, s16, s15
	v_cvt_u32_f32_e32 v5, v2
	v_cvt_f32_u32_e32 v2, s73
	s_mul_i32 s48, s42, s14
	v_rcp_iflag_f32_e32 v1, v1
	v_cvt_f32_u32_e32 v4, s66
	v_cvt_f32_u32_e32 v6, s68
	s_mul_i32 s43, s48, s46
	s_mul_hi_u32 s46, s48, s45
	s_add_i32 s46, s46, s43
	s_mul_i32 s43, s42, s47
	s_mul_hi_u32 s47, s42, s14
	s_add_i32 s47, s47, s43
	s_mul_hi_i32 s43, s16, s15
	v_rcp_iflag_f32_e32 v2, v2
	s_mul_i32 s49, s43, s14
	v_mul_f32_e32 v1, 0x4f7ffffe, v1
	v_rcp_iflag_f32_e32 v4, v4
	v_rcp_iflag_f32_e32 v6, v6
	s_add_i32 s49, s47, s49
	v_cvt_u32_f32_e32 v1, v1
	s_mul_i32 s47, s49, s45
	s_load_dword s50, s[4:5], 0x11c
	s_add_i32 s47, s46, s47
	s_mul_i32 s46, s48, s45
	v_mul_f32_e32 v2, 0x4f7ffffe, v2
	s_ashr_i32 s65, s44, 31
	s_lshl_b64 s[44:45], s[46:47], 1
	s_sub_i32 s46, 0, s71
	v_mul_f32_e32 v4, 0x4f7ffffe, v4
	v_cvt_u32_f32_e32 v8, v2
	v_mul_f32_e32 v2, 0x4f7ffffe, v6
	v_mul_lo_u32 v3, s46, v1
	v_cvt_u32_f32_e32 v4, v4
	v_cvt_u32_f32_e32 v6, v2
	s_waitcnt lgkmcnt(0)
	s_and_b32 s64, s50, 0xffff
	s_sub_i32 s47, 0, s72
	s_sub_i32 s50, 0, s66
	;; [unrolled: 1-line block ×4, first 2 shown]
	s_load_dwordx2 s[4:5], s[4:5], 0x20
	v_mul_lo_u32 v7, s47, v5
	v_mul_lo_u32 v9, s50, v4
	v_mul_hi_u32 v2, v1, v3
	v_mul_lo_u32 v3, s51, v8
	v_mul_lo_u32 v10, s52, v6
	s_mul_i32 s69, s1, s13
	s_mul_i32 s1, s1, s12
	s_ashr_i32 s67, s2, 31
	s_ashr_i32 s70, s69, 31
	;; [unrolled: 1-line block ×3, first 2 shown]
	v_add_u32_e32 v14, v1, v2
	v_mul_hi_u32 v1, v5, v7
	v_mul_hi_u32 v7, v4, v9
	;; [unrolled: 1-line block ×4, first 2 shown]
	s_waitcnt lgkmcnt(0)
	s_add_u32 s4, s4, s44
	s_mul_i32 s2, s48, s2
	s_mul_hi_u32 s12, s48, s1
	s_addc_u32 s5, s5, s45
	s_add_i32 s2, s12, s2
	s_mul_i32 s49, s49, s1
	s_add_i32 s13, s2, s49
	s_mul_i32 s12, s48, s1
	s_mov_b32 s2, s16
	s_mov_b32 s74, s0
	v_mov_b32_e32 v2, 0
	v_add_u32_e32 v15, v5, v1
	v_add_u32_e32 v16, v4, v7
	;; [unrolled: 1-line block ×4, first 2 shown]
	s_lshl_b64 s[12:13], s[12:13], 1
	s_lshl_b64 s[42:43], s[42:43], 1
	;; [unrolled: 1-line block ×3, first 2 shown]
	v_mov_b32_e32 v19, 0x7c00
	v_mov_b32_e32 v20, 0x7e00
	s_mov_b32 s75, s8
	s_mov_b32 s76, s9
	;; [unrolled: 1-line block ×4, first 2 shown]
	s_sub_i32 s37, 0, s37
	s_movk_i32 s79, 0x1ff
	s_movk_i32 s80, 0xffe
	;; [unrolled: 1-line block ×3, first 2 shown]
	s_mov_b32 s82, 0x8000
	s_mov_b64 s[8:9], 0
	s_branch .LBB82_3
.LBB82_2:                               ;   in Loop: Header=BB82_3 Depth=1
	v_add_u32_e32 v0, s64, v0
	v_cmp_le_i32_e32 vcc, s33, v0
	s_or_b64 s[8:9], vcc, s[8:9]
	s_andn2_b64 exec, exec, s[8:9]
	s_cbranch_execz .LBB82_23
.LBB82_3:                               ; =>This Loop Header: Depth=1
                                        ;     Child Loop BB82_8 Depth 2
                                        ;       Child Loop BB82_11 Depth 3
                                        ;         Child Loop BB82_14 Depth 4
                                        ;           Child Loop BB82_17 Depth 5
	v_sub_u32_e32 v1, 0, v0
	v_max_i32_e32 v5, v0, v1
	v_mul_hi_u32 v1, v5, v14
	v_ashrrev_i32_e32 v6, 31, v0
	v_xor_b32_e32 v4, s61, v6
	s_mov_b64 s[38:39], -1
	v_mul_lo_u32 v3, v1, s71
	v_add_u32_e32 v7, 1, v1
	v_sub_u32_e32 v3, v5, v3
	v_cmp_le_u32_e32 vcc, s71, v3
	v_cndmask_b32_e32 v1, v1, v7, vcc
	v_subrev_u32_e32 v7, s71, v3
	v_cndmask_b32_e32 v3, v3, v7, vcc
	v_add_u32_e32 v7, 1, v1
	v_cmp_le_u32_e32 vcc, s71, v3
	v_cndmask_b32_e32 v1, v1, v7, vcc
	v_xor_b32_e32 v1, v1, v4
	v_sub_u32_e32 v1, v1, v4
	v_mul_hi_u32 v4, v5, v16
	v_sub_u32_e32 v3, 0, v1
	v_max_i32_e32 v7, v1, v3
	v_mul_hi_u32 v3, v7, v15
	v_mul_lo_u32 v8, v4, s66
	v_add_u32_e32 v10, 1, v4
	v_mul_lo_u32 v9, v3, s72
	v_sub_u32_e32 v8, v5, v8
	v_cmp_le_u32_e32 vcc, s66, v8
	v_cndmask_b32_e32 v4, v4, v10, vcc
	v_subrev_u32_e32 v10, s66, v8
	v_cndmask_b32_e32 v8, v8, v10, vcc
	v_add_u32_e32 v10, 1, v4
	v_cmp_le_u32_e32 vcc, s66, v8
	v_xor_b32_e32 v3, s65, v6
	v_cndmask_b32_e32 v4, v4, v10, vcc
	v_xor_b32_e32 v4, v4, v3
	v_sub_u32_e32 v3, v4, v3
	v_sub_u32_e32 v4, 0, v3
	v_max_i32_e32 v8, v3, v4
	v_mul_hi_u32 v4, v8, v17
	v_sub_u32_e32 v7, v7, v9
	v_subrev_u32_e32 v9, s72, v7
	v_cmp_le_u32_e32 vcc, s72, v7
	v_mul_lo_u32 v10, v4, s73
	v_cndmask_b32_e32 v4, v7, v9, vcc
	v_mul_hi_u32 v7, v5, v18
	v_xor_b32_e32 v6, s67, v6
	v_sub_u32_e32 v8, v8, v10
	v_subrev_u32_e32 v9, s73, v8
	v_mul_lo_u32 v10, v7, s68
	v_cmp_le_u32_e32 vcc, s73, v8
	v_cndmask_b32_e32 v9, v8, v9, vcc
	v_add_u32_e32 v8, 1, v7
	v_sub_u32_e32 v5, v5, v10
	v_cmp_le_u32_e32 vcc, s68, v5
	v_cndmask_b32_e32 v7, v7, v8, vcc
	v_subrev_u32_e32 v8, s68, v5
	v_cndmask_b32_e32 v5, v5, v8, vcc
	v_add_u32_e32 v8, 1, v7
	v_cmp_le_u32_e32 vcc, s68, v5
	v_cndmask_b32_e32 v5, v7, v8, vcc
	v_xor_b32_e32 v5, v5, v6
	v_cmp_le_u32_e64 s[0:1], s72, v4
	v_cmp_le_u32_e64 s[2:3], s73, v9
	v_sub_u32_e32 v5, v5, v6
	s_andn2_b64 vcc, exec, s[6:7]
	s_cbranch_vccnz .LBB82_5
; %bb.4:                                ;   in Loop: Header=BB82_3 Depth=1
	v_ashrrev_i32_e32 v6, 31, v5
	s_mov_b64 s[38:39], 0
.LBB82_5:                               ;   in Loop: Header=BB82_3 Depth=1
	v_subrev_u32_e32 v8, s72, v4
	v_mul_lo_u32 v7, v1, s74
	v_ashrrev_i32_e32 v1, 31, v1
	v_cndmask_b32_e64 v4, v4, v8, s[0:1]
	v_xor_b32_e32 v4, v4, v1
	v_sub_u32_e32 v8, v4, v1
	v_ashrrev_i32_e32 v1, 31, v3
	v_subrev_u32_e32 v3, s73, v9
	v_cndmask_b32_e64 v3, v9, v3, s[2:3]
	v_xor_b32_e32 v9, v3, v1
	v_mov_b32_e32 v3, 0
	v_sub_u32_e32 v7, v0, v7
	v_mov_b32_e32 v4, 0
	s_andn2_b64 vcc, exec, s[38:39]
	v_sub_u32_e32 v9, v9, v1
	s_cbranch_vccnz .LBB82_19
; %bb.6:                                ;   in Loop: Header=BB82_3 Depth=1
	v_mul_lo_u32 v1, v7, s22
	v_mul_lo_u32 v21, v9, s20
	;; [unrolled: 1-line block ×3, first 2 shown]
	v_mov_b32_e32 v3, 0
	v_ashrrev_i32_e32 v6, 31, v5
	v_add_u32_e32 v23, s37, v1
	s_mov_b32 s83, 0
	v_mov_b32_e32 v4, 0
	s_mov_b64 s[2:3], s[4:5]
	s_branch .LBB82_8
.LBB82_7:                               ;   in Loop: Header=BB82_8 Depth=2
	s_add_i32 s83, s83, 1
	s_add_u32 s2, s2, s12
	s_addc_u32 s3, s3, s13
	s_cmp_eq_u32 s83, s11
	s_cbranch_scc1 .LBB82_19
.LBB82_8:                               ;   Parent Loop BB82_3 Depth=1
                                        ; =>  This Loop Header: Depth=2
                                        ;       Child Loop BB82_11 Depth 3
                                        ;         Child Loop BB82_14 Depth 4
                                        ;           Child Loop BB82_17 Depth 5
	s_andn2_b64 vcc, exec, s[24:25]
	s_cbranch_vccnz .LBB82_7
; %bb.9:                                ;   in Loop: Header=BB82_8 Depth=2
	v_mov_b32_e32 v1, s69
	v_mad_u64_u32 v[10:11], s[0:1], s83, v1, v[5:6]
	s_mul_i32 s0, s83, s70
	s_mov_b32 s84, 0
	v_add_u32_e32 v1, s0, v11
	v_mul_lo_u32 v12, v10, s54
	v_mad_u64_u32 v[10:11], s[0:1], v10, s75, 0
	v_mul_lo_u32 v1, v1, s75
	s_mov_b64 s[38:39], s[2:3]
	v_add3_u32 v11, v11, v12, v1
	s_branch .LBB82_11
.LBB82_10:                              ;   in Loop: Header=BB82_11 Depth=3
	s_add_i32 s84, s84, 1
	s_add_u32 s38, s38, s42
	s_addc_u32 s39, s39, s43
	s_cmp_eq_u32 s84, s14
	s_cbranch_scc1 .LBB82_7
.LBB82_11:                              ;   Parent Loop BB82_3 Depth=1
                                        ;     Parent Loop BB82_8 Depth=2
                                        ; =>    This Loop Header: Depth=3
                                        ;         Child Loop BB82_14 Depth 4
                                        ;           Child Loop BB82_17 Depth 5
	s_andn2_b64 vcc, exec, s[26:27]
	s_cbranch_vccnz .LBB82_10
; %bb.12:                               ;   in Loop: Header=BB82_11 Depth=3
	s_mul_i32 s0, s84, s17
	s_sub_i32 s0, s0, s23
	v_add_u32_e32 v1, s0, v21
	v_add_co_u32_e32 v12, vcc, v10, v1
	v_addc_co_u32_e32 v13, vcc, 0, v11, vcc
	v_mul_lo_u32 v24, v13, s76
	v_mul_lo_u32 v25, v12, s55
	v_mad_u64_u32 v[12:13], s[0:1], v12, s76, 0
	v_cmp_gt_i32_e32 vcc, 0, v1
	v_cmp_le_i32_e64 s[0:1], s75, v1
	s_mov_b32 s85, 0
	s_or_b64 s[46:47], vcc, s[0:1]
	v_add3_u32 v13, v13, v25, v24
	s_mov_b64 s[48:49], s[38:39]
	s_branch .LBB82_14
.LBB82_13:                              ;   in Loop: Header=BB82_14 Depth=4
	s_add_i32 s85, s85, 1
	s_add_u32 s48, s48, s44
	s_addc_u32 s49, s49, s45
	s_cmp_eq_u32 s85, s15
	s_cbranch_scc1 .LBB82_10
.LBB82_14:                              ;   Parent Loop BB82_3 Depth=1
                                        ;     Parent Loop BB82_8 Depth=2
                                        ;       Parent Loop BB82_11 Depth=3
                                        ; =>      This Loop Header: Depth=4
                                        ;           Child Loop BB82_17 Depth 5
	s_andn2_b64 vcc, exec, s[34:35]
	s_cbranch_vccnz .LBB82_13
; %bb.15:                               ;   in Loop: Header=BB82_14 Depth=4
	s_mul_i32 s0, s85, s18
	s_sub_i32 s0, s0, s36
	v_add_u32_e32 v1, s0, v22
	v_add_co_u32_e64 v24, s[0:1], v12, v1
	v_addc_co_u32_e64 v25, s[0:1], 0, v13, s[0:1]
	v_mul_lo_u32 v26, v25, s10
	v_mul_lo_u32 v27, v24, s56
	v_mad_u64_u32 v[24:25], s[0:1], v24, s10, 0
	v_cmp_gt_i32_e32 vcc, 0, v1
	v_cmp_le_i32_e64 s[0:1], s76, v1
	v_add3_u32 v25, v25, v27, v26
	v_lshlrev_b64 v[24:25], 1, v[24:25]
	s_or_b64 s[0:1], vcc, s[0:1]
	v_mov_b32_e32 v1, s58
	v_add_co_u32_e32 v24, vcc, s57, v24
	s_or_b64 s[50:51], s[46:47], s[0:1]
	v_addc_co_u32_e32 v25, vcc, v1, v25, vcc
	v_mov_b32_e32 v1, v23
	s_mov_b64 s[52:53], s[48:49]
	s_mov_b32 s86, s16
	s_branch .LBB82_17
.LBB82_16:                              ;   in Loop: Header=BB82_17 Depth=5
	s_or_b64 exec, exec, s[0:1]
	s_add_i32 s86, s86, -1
	s_add_u32 s52, s52, 2
	s_addc_u32 s53, s53, 0
	s_cmp_eq_u32 s86, 0
	v_add_u32_e32 v1, s19, v1
	s_cbranch_scc1 .LBB82_13
.LBB82_17:                              ;   Parent Loop BB82_3 Depth=1
                                        ;     Parent Loop BB82_8 Depth=2
                                        ;       Parent Loop BB82_11 Depth=3
                                        ;         Parent Loop BB82_14 Depth=4
                                        ; =>        This Inner Loop Header: Depth=5
	v_cmp_gt_i32_e32 vcc, 0, v1
	v_cmp_le_i32_e64 s[0:1], s10, v1
	s_or_b64 s[0:1], vcc, s[0:1]
	s_nor_b64 s[88:89], s[50:51], s[0:1]
	s_and_saveexec_b64 s[0:1], s[88:89]
	s_cbranch_execz .LBB82_16
; %bb.18:                               ;   in Loop: Header=BB82_17 Depth=5
	v_lshlrev_b64 v[26:27], 1, v[1:2]
	v_add_co_u32_e32 v26, vcc, v24, v26
	v_addc_co_u32_e32 v27, vcc, v25, v27, vcc
	global_load_ushort v26, v[26:27], off
	s_nop 0
	global_load_ushort v27, v2, s[52:53]
	s_waitcnt vmcnt(1)
	v_cvt_f32_f16_e32 v26, v26
	s_waitcnt vmcnt(0)
	v_cvt_f32_f16_e32 v28, v27
	v_cvt_f64_f32_e32 v[26:27], v26
	v_cvt_f64_f32_e32 v[28:29], v28
	v_fma_f64 v[3:4], v[26:27], v[28:29], v[3:4]
	s_branch .LBB82_16
.LBB82_19:                              ;   in Loop: Header=BB82_3 Depth=1
	v_ashrrev_i32_e32 v10, 31, v9
	v_mul_lo_u32 v1, v5, s59
	v_mul_lo_u32 v11, v6, s77
	v_mad_u64_u32 v[5:6], s[0:1], v5, s77, v[9:10]
	v_ashrrev_i32_e32 v9, 31, v8
	s_and_b64 vcc, exec, s[40:41]
	v_add3_u32 v1, v11, v6, v1
	v_mul_lo_u32 v1, v1, s78
	v_mad_u64_u32 v[9:10], s[0:1], v5, s78, v[8:9]
	v_mul_lo_u32 v5, v5, s60
	v_ashrrev_i32_e32 v8, 31, v7
	v_add3_u32 v1, v1, v10, v5
	v_mul_lo_u32 v1, v1, s74
	v_mul_lo_u32 v10, v9, s61
	v_mad_u64_u32 v[5:6], s[0:1], v9, s74, v[7:8]
	s_mov_b64 s[0:1], -1
	v_add3_u32 v6, v1, v6, v10
	s_cbranch_vccz .LBB82_21
; %bb.20:                               ;   in Loop: Header=BB82_3 Depth=1
	v_lshlrev_b64 v[7:8], 1, v[5:6]
	v_mov_b32_e32 v1, s63
	v_add_co_u32_e32 v7, vcc, s62, v7
	v_addc_co_u32_e32 v8, vcc, v1, v8, vcc
	global_load_ushort v1, v[7:8], off
	s_mov_b64 s[0:1], 0
	s_waitcnt vmcnt(0)
	v_cvt_f32_f16_e32 v1, v1
	v_cvt_f64_f32_e32 v[9:10], v1
	v_mul_f64 v[9:10], s[30:31], v[9:10]
	v_fma_f64 v[9:10], s[28:29], v[3:4], v[9:10]
	v_and_or_b32 v1, v10, s79, v9
	v_cmp_ne_u32_e32 vcc, 0, v1
	v_lshrrev_b32_e32 v9, 8, v10
	v_bfe_u32 v11, v10, 20, 11
	v_cndmask_b32_e64 v1, 0, 1, vcc
	v_sub_u32_e32 v12, 0x3f1, v11
	v_and_or_b32 v1, v9, s80, v1
	v_med3_i32 v9, v12, 0, 13
	v_or_b32_e32 v12, 0x1000, v1
	v_lshrrev_b32_e32 v21, v9, v12
	v_add_u32_e32 v11, 0xfffffc10, v11
	v_cmp_ne_u32_e32 vcc, 0, v1
	v_lshlrev_b32_e32 v9, v9, v21
	v_lshl_or_b32 v13, v11, 12, v1
	v_cndmask_b32_e32 v1, v19, v20, vcc
	v_cmp_ne_u32_e32 vcc, v9, v12
	v_cndmask_b32_e64 v9, 0, 1, vcc
	v_or_b32_e32 v9, v21, v9
	v_cmp_gt_i32_e32 vcc, 1, v11
	v_cndmask_b32_e32 v9, v13, v9, vcc
	v_and_b32_e32 v12, 7, v9
	v_cmp_lt_i32_e32 vcc, 5, v12
	v_cndmask_b32_e64 v13, 0, 1, vcc
	v_cmp_eq_u32_e32 vcc, 3, v12
	v_cndmask_b32_e64 v12, 0, 1, vcc
	v_lshrrev_b32_e32 v9, 2, v9
	v_or_b32_e32 v12, v12, v13
	v_add_u32_e32 v9, v9, v12
	v_cmp_gt_i32_e32 vcc, 31, v11
	v_cndmask_b32_e32 v9, v19, v9, vcc
	v_cmp_eq_u32_e32 vcc, s81, v11
	v_lshrrev_b32_e32 v10, 16, v10
	v_cndmask_b32_e32 v1, v9, v1, vcc
	v_and_or_b32 v1, v10, s82, v1
	global_store_short v[7:8], v1, off
.LBB82_21:                              ;   in Loop: Header=BB82_3 Depth=1
	s_andn2_b64 vcc, exec, s[0:1]
	s_cbranch_vccnz .LBB82_2
; %bb.22:                               ;   in Loop: Header=BB82_3 Depth=1
	v_and_or_b32 v1, v4, s79, v3
	v_cmp_ne_u32_e32 vcc, 0, v1
	v_cndmask_b32_e64 v1, 0, 1, vcc
	v_lshrrev_b32_e32 v3, 8, v4
	v_bfe_u32 v7, v4, 20, 11
	v_and_or_b32 v1, v3, s80, v1
	v_sub_u32_e32 v8, 0x3f1, v7
	v_or_b32_e32 v3, 0x1000, v1
	v_med3_i32 v8, v8, 0, 13
	v_lshrrev_b32_e32 v9, v8, v3
	v_lshlrev_b32_e32 v8, v8, v9
	v_cmp_ne_u32_e32 vcc, v8, v3
	v_cndmask_b32_e64 v3, 0, 1, vcc
	v_add_u32_e32 v7, 0xfffffc10, v7
	v_or_b32_e32 v3, v9, v3
	v_lshl_or_b32 v8, v7, 12, v1
	v_cmp_gt_i32_e32 vcc, 1, v7
	v_cndmask_b32_e32 v3, v8, v3, vcc
	v_and_b32_e32 v8, 7, v3
	v_cmp_lt_i32_e32 vcc, 5, v8
	v_cndmask_b32_e64 v9, 0, 1, vcc
	v_cmp_eq_u32_e32 vcc, 3, v8
	v_cndmask_b32_e64 v8, 0, 1, vcc
	v_or_b32_e32 v8, v8, v9
	v_lshrrev_b32_e32 v3, 2, v3
	v_add_u32_e32 v3, v3, v8
	v_cmp_gt_i32_e32 vcc, 31, v7
	v_cndmask_b32_e32 v3, v19, v3, vcc
	v_cmp_ne_u32_e32 vcc, 0, v1
	v_cndmask_b32_e32 v1, v19, v20, vcc
	v_cmp_eq_u32_e32 vcc, s81, v7
	v_cndmask_b32_e32 v1, v3, v1, vcc
	v_lshrrev_b32_e32 v3, 16, v4
	v_and_or_b32 v1, v3, s82, v1
	v_lshlrev_b64 v[3:4], 1, v[5:6]
	v_mov_b32_e32 v5, s63
	v_add_co_u32_e32 v3, vcc, s62, v3
	v_addc_co_u32_e32 v4, vcc, v5, v4, vcc
	global_store_short v[3:4], v1, off
	s_branch .LBB82_2
.LBB82_23:
	s_endpgm
	.section	.rodata,"a",@progbits
	.p2align	6, 0x0
	.amdhsa_kernel naive_conv_ab_packed_wrw_ncdhw_half_double_half
		.amdhsa_group_segment_fixed_size 0
		.amdhsa_private_segment_fixed_size 0
		.amdhsa_kernarg_size 528
		.amdhsa_user_sgpr_count 6
		.amdhsa_user_sgpr_private_segment_buffer 1
		.amdhsa_user_sgpr_dispatch_ptr 0
		.amdhsa_user_sgpr_queue_ptr 0
		.amdhsa_user_sgpr_kernarg_segment_ptr 1
		.amdhsa_user_sgpr_dispatch_id 0
		.amdhsa_user_sgpr_flat_scratch_init 0
		.amdhsa_user_sgpr_private_segment_size 0
		.amdhsa_uses_dynamic_stack 0
		.amdhsa_system_sgpr_private_segment_wavefront_offset 0
		.amdhsa_system_sgpr_workgroup_id_x 1
		.amdhsa_system_sgpr_workgroup_id_y 0
		.amdhsa_system_sgpr_workgroup_id_z 0
		.amdhsa_system_sgpr_workgroup_info 0
		.amdhsa_system_vgpr_workitem_id 0
		.amdhsa_next_free_vgpr 30
		.amdhsa_next_free_sgpr 90
		.amdhsa_reserve_vcc 1
		.amdhsa_reserve_flat_scratch 0
		.amdhsa_float_round_mode_32 0
		.amdhsa_float_round_mode_16_64 0
		.amdhsa_float_denorm_mode_32 3
		.amdhsa_float_denorm_mode_16_64 3
		.amdhsa_dx10_clamp 1
		.amdhsa_ieee_mode 1
		.amdhsa_fp16_overflow 0
		.amdhsa_exception_fp_ieee_invalid_op 0
		.amdhsa_exception_fp_denorm_src 0
		.amdhsa_exception_fp_ieee_div_zero 0
		.amdhsa_exception_fp_ieee_overflow 0
		.amdhsa_exception_fp_ieee_underflow 0
		.amdhsa_exception_fp_ieee_inexact 0
		.amdhsa_exception_int_div_zero 0
	.end_amdhsa_kernel
	.text
.Lfunc_end82:
	.size	naive_conv_ab_packed_wrw_ncdhw_half_double_half, .Lfunc_end82-naive_conv_ab_packed_wrw_ncdhw_half_double_half
                                        ; -- End function
	.set naive_conv_ab_packed_wrw_ncdhw_half_double_half.num_vgpr, 30
	.set naive_conv_ab_packed_wrw_ncdhw_half_double_half.num_agpr, 0
	.set naive_conv_ab_packed_wrw_ncdhw_half_double_half.numbered_sgpr, 90
	.set naive_conv_ab_packed_wrw_ncdhw_half_double_half.num_named_barrier, 0
	.set naive_conv_ab_packed_wrw_ncdhw_half_double_half.private_seg_size, 0
	.set naive_conv_ab_packed_wrw_ncdhw_half_double_half.uses_vcc, 1
	.set naive_conv_ab_packed_wrw_ncdhw_half_double_half.uses_flat_scratch, 0
	.set naive_conv_ab_packed_wrw_ncdhw_half_double_half.has_dyn_sized_stack, 0
	.set naive_conv_ab_packed_wrw_ncdhw_half_double_half.has_recursion, 0
	.set naive_conv_ab_packed_wrw_ncdhw_half_double_half.has_indirect_call, 0
	.section	.AMDGPU.csdata,"",@progbits
; Kernel info:
; codeLenInByte = 2500
; TotalNumSgprs: 94
; NumVgprs: 30
; ScratchSize: 0
; MemoryBound: 0
; FloatMode: 240
; IeeeMode: 1
; LDSByteSize: 0 bytes/workgroup (compile time only)
; SGPRBlocks: 11
; VGPRBlocks: 7
; NumSGPRsForWavesPerEU: 94
; NumVGPRsForWavesPerEU: 30
; Occupancy: 8
; WaveLimiterHint : 0
; COMPUTE_PGM_RSRC2:SCRATCH_EN: 0
; COMPUTE_PGM_RSRC2:USER_SGPR: 6
; COMPUTE_PGM_RSRC2:TRAP_HANDLER: 0
; COMPUTE_PGM_RSRC2:TGID_X_EN: 1
; COMPUTE_PGM_RSRC2:TGID_Y_EN: 0
; COMPUTE_PGM_RSRC2:TGID_Z_EN: 0
; COMPUTE_PGM_RSRC2:TIDIG_COMP_CNT: 0
	.text
	.protected	naive_conv_ab_nonpacked_wrw_ncdhw_half_double_half ; -- Begin function naive_conv_ab_nonpacked_wrw_ncdhw_half_double_half
	.globl	naive_conv_ab_nonpacked_wrw_ncdhw_half_double_half
	.p2align	8
	.type	naive_conv_ab_nonpacked_wrw_ncdhw_half_double_half,@function
naive_conv_ab_nonpacked_wrw_ncdhw_half_double_half: ; @naive_conv_ab_nonpacked_wrw_ncdhw_half_double_half
; %bb.0:
	s_load_dwordx16 s[8:23], s[4:5], 0xb8
	s_load_dword s33, s[4:5], 0x108
	s_load_dwordx4 s[68:71], s[4:5], 0xf8
	s_waitcnt lgkmcnt(0)
	s_abs_i32 s0, s12
	v_cvt_f32_u32_e32 v1, s0
	s_mul_i32 s73, s33, s71
	s_mul_i32 s72, s73, s70
	;; [unrolled: 1-line block ×3, first 2 shown]
	v_rcp_iflag_f32_e32 v1, v1
	v_cmp_gt_i32_e32 vcc, s76, v0
	v_mul_f32_e32 v1, 0x4f7ffffe, v1
	v_cvt_u32_f32_e32 v1, v1
	v_readfirstlane_b32 s1, v1
	s_and_saveexec_b64 s[2:3], vcc
	s_cbranch_execz .LBB83_23
; %bb.1:
	s_sub_i32 s13, 0, s0
	s_mul_i32 s13, s13, s1
	s_mul_hi_u32 s13, s1, s13
	s_abs_i32 s7, s6
	s_add_i32 s1, s1, s13
	s_ashr_i32 s2, s6, 31
	s_ashr_i32 s3, s12, 31
	s_mul_hi_u32 s1, s7, s1
	s_xor_b32 s2, s2, s3
	s_mul_i32 s3, s1, s0
	s_sub_i32 s3, s7, s3
	s_add_i32 s7, s1, 1
	s_sub_i32 s13, s3, s0
	s_cmp_ge_u32 s3, s0
	s_cselect_b32 s1, s7, s1
	s_cselect_b32 s3, s13, s3
	s_add_i32 s7, s1, 1
	s_load_dwordx16 s[36:51], s[4:5], 0x28
	s_cmp_ge_u32 s3, s0
	s_cselect_b32 s0, s7, s1
	s_xor_b32 s0, s0, s2
	s_sub_i32 s13, s0, s2
	s_load_dwordx8 s[24:31], s[4:5], 0x0
	s_mul_i32 s0, s13, s12
	s_ashr_i32 s34, s13, 31
	s_sub_i32 s12, s6, s0
	s_waitcnt lgkmcnt(0)
	s_mul_i32 s0, s44, s34
	s_mul_hi_u32 s1, s44, s13
	s_add_i32 s0, s1, s0
	s_mul_i32 s1, s45, s13
	s_load_dwordx16 s[52:67], s[4:5], 0x68
	s_add_i32 s1, s0, s1
	s_mul_i32 s0, s44, s13
	s_lshl_b64 s[0:1], s[0:1], 1
	s_add_u32 s0, s24, s0
                                        ; implicit-def: $vgpr32 : SGPR spill to VGPR lane
	s_waitcnt lgkmcnt(0)
	s_mul_hi_u32 s2, s56, s12
	v_writelane_b32 v32, s0, 0
	s_addc_u32 s0, s25, s1
	v_writelane_b32 v32, s0, 1
	s_mul_i32 s0, s58, s34
	s_mul_hi_u32 s1, s58, s13
	s_ashr_i32 s24, s12, 31
	s_add_i32 s0, s1, s0
	s_mul_i32 s1, s56, s24
	s_add_i32 s2, s2, s1
	s_mul_i32 s1, s59, s13
	;; [unrolled: 2-line block ×3, first 2 shown]
	s_mul_i32 s3, s57, s12
	s_add_i32 s7, s2, s3
	s_lshl_b64 s[0:1], s[0:1], 1
	s_add_u32 s25, s26, s0
	s_addc_u32 s26, s27, s1
	s_load_dwordx4 s[0:3], s[4:5], 0xa8
	s_mul_i32 s6, s56, s12
	s_lshl_b64 s[6:7], s[6:7], 1
	s_add_u32 s79, s25, s6
	s_addc_u32 s80, s26, s7
	s_waitcnt lgkmcnt(0)
	s_mul_i32 s6, s0, s34
	s_mul_hi_u32 s7, s0, s13
	s_add_i32 s6, s7, s6
	s_mul_i32 s1, s1, s13
	s_add_i32 s1, s6, s1
	s_load_dwordx2 s[6:7], s[4:5], 0x20
	s_load_dword s56, s[4:5], 0x11c
	s_mul_i32 s0, s0, s13
	s_mul_i32 s13, s66, s24
	s_mul_hi_u32 s24, s66, s12
	s_add_i32 s13, s24, s13
	s_mul_i32 s24, s67, s12
	s_add_i32 s13, s13, s24
	s_lshl_b64 s[0:1], s[0:1], 1
	s_waitcnt lgkmcnt(0)
	s_add_u32 s6, s6, s0
	s_mul_i32 s12, s66, s12
	s_addc_u32 s7, s7, s1
	s_lshl_b64 s[0:1], s[12:13], 1
	s_add_u32 s6, s6, s0
	s_addc_u32 s7, s7, s1
	s_cmp_lt_i32 s11, 1
	s_cselect_b64 s[12:13], -1, 0
	s_cmp_gt_i32 s14, 0
	s_cselect_b64 s[24:25], -1, 0
	s_cmp_gt_i32 s15, 0
	;; [unrolled: 2-line block ×3, first 2 shown]
	s_cselect_b64 s[34:35], -1, 0
	s_abs_i32 s81, s33
	v_cvt_f32_u32_e32 v1, s81
	s_abs_i32 s82, s71
	v_cvt_f32_u32_e32 v2, s82
	;; [unrolled: 2-line block ×3, first 2 shown]
	s_abs_i32 s84, s70
	v_cmp_neq_f64_e64 s[0:1], s[28:29], 1.0
	v_cmp_neq_f64_e64 s[44:45], s[30:31], 0
	v_rcp_iflag_f32_e32 v1, v1
	v_cvt_f32_u32_e32 v6, s84
	s_abs_i32 s85, s72
	v_rcp_iflag_f32_e32 v2, v2
	v_cvt_f32_u32_e32 v7, s85
	v_rcp_iflag_f32_e32 v3, v3
	v_mul_f32_e32 v1, 0x4f7ffffe, v1
	v_rcp_iflag_f32_e32 v6, v6
	v_cvt_u32_f32_e32 v1, v1
	v_mul_f32_e32 v2, 0x4f7ffffe, v2
	v_rcp_iflag_f32_e32 v7, v7
	v_cvt_u32_f32_e32 v2, v2
	v_mul_f32_e32 v3, 0x4f7ffffe, v3
	s_or_b64 s[4:5], s[0:1], s[44:45]
	s_sub_i32 s0, 0, s81
	v_cvt_u32_f32_e32 v3, v3
	v_mul_f32_e32 v6, 0x4f7ffffe, v6
	v_mul_lo_u32 v4, s0, v1
	s_sub_i32 s0, 0, s82
	v_cvt_u32_f32_e32 v9, v6
	v_mul_f32_e32 v6, 0x4f7ffffe, v7
	v_mul_lo_u32 v5, s0, v2
	v_cvt_u32_f32_e32 v10, v6
	s_sub_i32 s0, 0, s83
	v_mul_lo_u32 v8, s0, v3
	s_sub_i32 s0, 0, s84
	v_mul_lo_u32 v11, s0, v9
	s_sub_i32 s0, 0, s85
	v_mul_hi_u32 v4, v1, v4
	v_mul_lo_u32 v12, s0, v10
	v_mul_hi_u32 v7, v2, v5
	s_lshl_b64 s[44:45], s[2:3], 1
	v_add_u32_e32 v5, v1, v4
	v_mul_hi_u32 v1, v3, v8
	v_add_u32_e32 v7, v2, v7
	v_mul_hi_u32 v2, v9, v11
	v_mul_hi_u32 v4, v10, v12
	s_and_b32 s86, s56, 0xffff
	v_mov_b32_e32 v6, 0
	s_ashr_i32 s87, s73, 31
	v_add_u32_e32 v8, v3, v1
	v_add_u32_e32 v9, v9, v2
	s_ashr_i32 s88, s72, 31
	v_add_u32_e32 v10, v10, v4
	v_mov_b32_e32 v11, 0x7c00
	v_mov_b32_e32 v12, 0x7e00
	s_ashr_i32 s89, s33, 31
	s_sub_i32 s69, 0, s69
	s_movk_i32 s90, 0x1ff
	s_movk_i32 s91, 0xffe
	;; [unrolled: 1-line block ×3, first 2 shown]
	s_mov_b32 s93, 0x8000
	s_mov_b64 s[56:57], 0
	s_lshl_b64 s[58:59], s[64:65], 1
	s_lshl_b64 s[62:63], s[62:63], 1
	s_lshl_b64 s[60:61], s[60:61], 1
	s_branch .LBB83_3
.LBB83_2:                               ;   in Loop: Header=BB83_3 Depth=1
	v_add_u32_e32 v0, s86, v0
	v_cmp_le_i32_e32 vcc, s76, v0
	s_or_b64 s[56:57], vcc, s[56:57]
	s_andn2_b64 exec, exec, s[56:57]
	s_cbranch_execz .LBB83_23
.LBB83_3:                               ; =>This Loop Header: Depth=1
                                        ;     Child Loop BB83_8 Depth 2
                                        ;       Child Loop BB83_11 Depth 3
                                        ;         Child Loop BB83_14 Depth 4
                                        ;           Child Loop BB83_17 Depth 5
	v_sub_u32_e32 v1, 0, v0
	v_max_i32_e32 v4, v0, v1
	v_mul_hi_u32 v1, v4, v5
	v_ashrrev_i32_e32 v13, 31, v0
	v_xor_b32_e32 v3, s89, v13
	s_mov_b64 s[64:65], -1
	v_mul_lo_u32 v2, v1, s81
	v_add_u32_e32 v14, 1, v1
	v_sub_u32_e32 v2, v4, v2
	v_cmp_le_u32_e32 vcc, s81, v2
	v_cndmask_b32_e32 v1, v1, v14, vcc
	v_subrev_u32_e32 v14, s81, v2
	v_cndmask_b32_e32 v2, v2, v14, vcc
	v_add_u32_e32 v14, 1, v1
	v_cmp_le_u32_e32 vcc, s81, v2
	v_cndmask_b32_e32 v1, v1, v14, vcc
	v_xor_b32_e32 v1, v1, v3
	v_sub_u32_e32 v1, v1, v3
	v_mul_hi_u32 v3, v4, v8
	v_sub_u32_e32 v2, 0, v1
	v_max_i32_e32 v14, v1, v2
	v_mul_hi_u32 v2, v14, v7
	v_mul_lo_u32 v15, v3, s83
	v_add_u32_e32 v17, 1, v3
	v_mul_lo_u32 v16, v2, s82
	v_sub_u32_e32 v15, v4, v15
	v_cmp_le_u32_e32 vcc, s83, v15
	v_cndmask_b32_e32 v3, v3, v17, vcc
	v_subrev_u32_e32 v17, s83, v15
	v_cndmask_b32_e32 v15, v15, v17, vcc
	v_add_u32_e32 v17, 1, v3
	v_cmp_le_u32_e32 vcc, s83, v15
	v_xor_b32_e32 v2, s87, v13
	v_cndmask_b32_e32 v3, v3, v17, vcc
	v_xor_b32_e32 v3, v3, v2
	v_sub_u32_e32 v2, v3, v2
	v_sub_u32_e32 v3, 0, v2
	v_max_i32_e32 v15, v2, v3
	v_mul_hi_u32 v3, v15, v9
	v_sub_u32_e32 v14, v14, v16
	v_subrev_u32_e32 v16, s82, v14
	v_cmp_le_u32_e32 vcc, s82, v14
	v_mul_lo_u32 v17, v3, s84
	v_cndmask_b32_e32 v3, v14, v16, vcc
	v_mul_hi_u32 v14, v4, v10
	v_xor_b32_e32 v13, s88, v13
	v_sub_u32_e32 v15, v15, v17
	v_subrev_u32_e32 v16, s84, v15
	v_mul_lo_u32 v17, v14, s85
	v_cmp_le_u32_e32 vcc, s84, v15
	v_cndmask_b32_e32 v15, v15, v16, vcc
	v_add_u32_e32 v16, 1, v14
	v_sub_u32_e32 v4, v4, v17
	v_cmp_le_u32_e32 vcc, s85, v4
	v_cndmask_b32_e32 v14, v14, v16, vcc
	v_subrev_u32_e32 v16, s85, v4
	v_cndmask_b32_e32 v4, v4, v16, vcc
	v_add_u32_e32 v16, 1, v14
	v_cmp_le_u32_e32 vcc, s85, v4
	v_cndmask_b32_e32 v4, v14, v16, vcc
	v_xor_b32_e32 v4, v4, v13
	v_cmp_le_u32_e64 s[0:1], s82, v3
	v_cmp_le_u32_e64 s[2:3], s84, v15
	v_sub_u32_e32 v13, v4, v13
	s_andn2_b64 vcc, exec, s[12:13]
                                        ; implicit-def: $vgpr14
	s_cbranch_vccnz .LBB83_5
; %bb.4:                                ;   in Loop: Header=BB83_3 Depth=1
	v_ashrrev_i32_e32 v14, 31, v13
	s_mov_b64 s[64:65], 0
.LBB83_5:                               ;   in Loop: Header=BB83_3 Depth=1
	v_subrev_u32_e32 v16, s82, v3
	v_mul_lo_u32 v4, v1, s33
	v_ashrrev_i32_e32 v1, 31, v1
	v_cndmask_b32_e64 v3, v3, v16, s[0:1]
	v_xor_b32_e32 v3, v3, v1
	v_sub_u32_e32 v3, v3, v1
	v_subrev_u32_e32 v1, s84, v15
	v_ashrrev_i32_e32 v16, 31, v2
	v_cndmask_b32_e64 v1, v15, v1, s[2:3]
	v_xor_b32_e32 v15, v1, v16
	v_mov_b32_e32 v1, 0
	v_sub_u32_e32 v4, v0, v4
	v_mov_b32_e32 v2, 0
	s_andn2_b64 vcc, exec, s[64:65]
	v_sub_u32_e32 v15, v15, v16
	s_cbranch_vccnz .LBB83_19
; %bb.6:                                ;   in Loop: Header=BB83_3 Depth=1
	v_ashrrev_i32_e32 v14, 31, v13
	v_mul_lo_u32 v18, s43, v13
	v_mul_lo_u32 v19, s42, v14
	v_mad_u64_u32 v[1:2], s[0:1], s42, v13, 0
	v_mul_lo_u32 v20, v4, s22
	v_readlane_b32 s0, v32, 1
	v_add3_u32 v2, v2, v19, v18
	v_lshlrev_b64 v[1:2], 1, v[1:2]
	v_mul_lo_u32 v16, v15, s20
	v_mul_lo_u32 v17, v3, s21
	v_mov_b32_e32 v19, s0
	v_readlane_b32 s0, v32, 0
	v_add_co_u32_e32 v18, vcc, s0, v1
	v_addc_co_u32_e32 v19, vcc, v19, v2, vcc
	v_mov_b32_e32 v1, 0
	v_add_u32_e32 v20, s69, v20
	s_mov_b32 s94, 0
	v_mov_b32_e32 v2, 0
	s_mov_b64 s[2:3], s[6:7]
	s_branch .LBB83_8
.LBB83_7:                               ;   in Loop: Header=BB83_8 Depth=2
	s_add_i32 s94, s94, 1
	s_add_u32 s2, s2, s44
	s_addc_u32 s3, s3, s45
	s_cmp_eq_u32 s94, s11
	s_cbranch_scc1 .LBB83_19
.LBB83_8:                               ;   Parent Loop BB83_3 Depth=1
                                        ; =>  This Loop Header: Depth=2
                                        ;       Child Loop BB83_11 Depth 3
                                        ;         Child Loop BB83_14 Depth 4
                                        ;           Child Loop BB83_17 Depth 5
	s_andn2_b64 vcc, exec, s[24:25]
	s_cbranch_vccnz .LBB83_7
; %bb.9:                                ;   in Loop: Header=BB83_8 Depth=2
	s_mul_i32 s0, s47, s94
	s_mul_hi_u32 s1, s46, s94
	s_add_i32 s1, s1, s0
	s_mul_i32 s0, s46, s94
	s_lshl_b64 s[0:1], s[0:1], 1
	v_mov_b32_e32 v22, s1
	v_add_co_u32_e32 v21, vcc, s0, v18
	v_addc_co_u32_e32 v22, vcc, v19, v22, vcc
	s_mov_b32 s95, 0
	s_mov_b64 s[64:65], s[2:3]
	s_branch .LBB83_11
.LBB83_10:                              ;   in Loop: Header=BB83_11 Depth=3
	s_add_i32 s95, s95, 1
	s_add_u32 s64, s64, s58
	s_addc_u32 s65, s65, s59
	s_cmp_eq_u32 s95, s14
	s_cbranch_scc1 .LBB83_7
.LBB83_11:                              ;   Parent Loop BB83_3 Depth=1
                                        ;     Parent Loop BB83_8 Depth=2
                                        ; =>    This Loop Header: Depth=3
                                        ;         Child Loop BB83_14 Depth 4
                                        ;           Child Loop BB83_17 Depth 5
	s_andn2_b64 vcc, exec, s[26:27]
	s_cbranch_vccnz .LBB83_10
; %bb.12:                               ;   in Loop: Header=BB83_11 Depth=3
	s_mul_i32 s0, s95, s17
	s_sub_i32 s0, s0, s23
	v_add_u32_e32 v26, s0, v16
	v_mad_u64_u32 v[23:24], s[0:1], s40, v26, 0
	v_cmp_gt_i32_e32 vcc, 0, v26
	s_mov_b32 s77, 0
	v_mad_u64_u32 v[24:25], s[0:1], s41, v26, v[24:25]
	v_cmp_le_i32_e64 s[0:1], s8, v26
	s_or_b64 s[66:67], vcc, s[0:1]
	v_lshlrev_b64 v[23:24], 1, v[23:24]
	s_mov_b64 s[70:71], s[64:65]
	v_add_co_u32_e32 v23, vcc, v21, v23
	v_addc_co_u32_e32 v24, vcc, v22, v24, vcc
	s_branch .LBB83_14
.LBB83_13:                              ;   in Loop: Header=BB83_14 Depth=4
	s_add_i32 s77, s77, 1
	s_add_u32 s70, s70, s62
	s_addc_u32 s71, s71, s63
	s_cmp_eq_u32 s77, s15
	s_cbranch_scc1 .LBB83_10
.LBB83_14:                              ;   Parent Loop BB83_3 Depth=1
                                        ;     Parent Loop BB83_8 Depth=2
                                        ;       Parent Loop BB83_11 Depth=3
                                        ; =>      This Loop Header: Depth=4
                                        ;           Child Loop BB83_17 Depth 5
	s_andn2_b64 vcc, exec, s[34:35]
	s_cbranch_vccnz .LBB83_13
; %bb.15:                               ;   in Loop: Header=BB83_14 Depth=4
	s_mul_i32 s0, s77, s18
	s_sub_i32 s0, s0, s68
	v_add_u32_e32 v28, s0, v17
	v_mad_u64_u32 v[25:26], s[0:1], s38, v28, 0
	v_cmp_gt_i32_e32 vcc, 0, v28
	s_mov_b64 s[74:75], s[70:71]
	v_mad_u64_u32 v[26:27], s[0:1], s39, v28, v[26:27]
	v_cmp_le_i32_e64 s[0:1], s9, v28
	s_or_b64 s[0:1], vcc, s[0:1]
	v_lshlrev_b64 v[25:26], 1, v[25:26]
	s_or_b64 s[72:73], s[66:67], s[0:1]
	v_add_co_u32_e32 v25, vcc, v23, v25
	v_addc_co_u32_e32 v26, vcc, v24, v26, vcc
	v_mov_b32_e32 v27, v20
	s_mov_b32 s78, s16
	s_branch .LBB83_17
.LBB83_16:                              ;   in Loop: Header=BB83_17 Depth=5
	s_or_b64 exec, exec, s[0:1]
	s_add_i32 s78, s78, -1
	s_add_u32 s74, s74, s60
	s_addc_u32 s75, s75, s61
	s_cmp_eq_u32 s78, 0
	v_add_u32_e32 v27, s19, v27
	s_cbranch_scc1 .LBB83_13
.LBB83_17:                              ;   Parent Loop BB83_3 Depth=1
                                        ;     Parent Loop BB83_8 Depth=2
                                        ;       Parent Loop BB83_11 Depth=3
                                        ;         Parent Loop BB83_14 Depth=4
                                        ; =>        This Inner Loop Header: Depth=5
	v_cmp_gt_i32_e32 vcc, 0, v27
	v_cmp_le_i32_e64 s[0:1], s10, v27
	s_or_b64 s[0:1], vcc, s[0:1]
	s_nor_b64 vcc, s[72:73], s[0:1]
	s_and_saveexec_b64 s[0:1], vcc
	s_cbranch_execz .LBB83_16
; %bb.18:                               ;   in Loop: Header=BB83_17 Depth=5
	v_mad_u64_u32 v[28:29], vcc, s36, v27, 0
	v_mad_u64_u32 v[29:30], vcc, s37, v27, v[29:30]
	v_lshlrev_b64 v[28:29], 1, v[28:29]
	v_add_co_u32_e32 v28, vcc, v25, v28
	v_addc_co_u32_e32 v29, vcc, v26, v29, vcc
	global_load_ushort v28, v[28:29], off
	s_nop 0
	global_load_ushort v29, v6, s[74:75]
	s_waitcnt vmcnt(1)
	v_cvt_f32_f16_e32 v28, v28
	s_waitcnt vmcnt(0)
	v_cvt_f32_f16_e32 v30, v29
	v_cvt_f64_f32_e32 v[28:29], v28
	v_cvt_f64_f32_e32 v[30:31], v30
	v_fma_f64 v[1:2], v[28:29], v[30:31], v[1:2]
	s_branch .LBB83_16
.LBB83_19:                              ;   in Loop: Header=BB83_3 Depth=1
	v_ashrrev_i32_e32 v16, 31, v4
	v_mul_lo_u32 v18, s49, v4
	v_mul_lo_u32 v19, s48, v16
	v_mad_u64_u32 v[16:17], s[0:1], s48, v4, 0
	v_ashrrev_i32_e32 v4, 31, v3
	v_mul_lo_u32 v4, s50, v4
	v_add3_u32 v17, v17, v19, v18
	v_mad_u64_u32 v[16:17], s[0:1], s50, v3, v[16:17]
	v_mul_lo_u32 v3, s51, v3
	v_ashrrev_i32_e32 v18, 31, v15
	v_mul_lo_u32 v14, v14, s54
	s_and_b64 vcc, exec, s[4:5]
	v_add3_u32 v17, v3, v17, v4
	v_mad_u64_u32 v[3:4], s[0:1], s52, v15, v[16:17]
	v_mul_lo_u32 v15, s53, v15
	v_mul_lo_u32 v16, s52, v18
	v_add3_u32 v4, v15, v4, v16
	v_mad_u64_u32 v[3:4], s[0:1], v13, s54, v[3:4]
	v_mul_lo_u32 v13, v13, s55
	s_mov_b64 s[0:1], -1
	v_add3_u32 v4, v14, v4, v13
	s_cbranch_vccz .LBB83_21
; %bb.20:                               ;   in Loop: Header=BB83_3 Depth=1
	v_lshlrev_b64 v[13:14], 1, v[3:4]
	v_mov_b32_e32 v15, s80
	v_add_co_u32_e32 v13, vcc, s79, v13
	v_addc_co_u32_e32 v14, vcc, v15, v14, vcc
	global_load_ushort v15, v[13:14], off
	s_mov_b64 s[0:1], 0
	s_waitcnt vmcnt(0)
	v_cvt_f32_f16_e32 v15, v15
	v_cvt_f64_f32_e32 v[15:16], v15
	v_mul_f64 v[15:16], s[30:31], v[15:16]
	v_fma_f64 v[15:16], s[28:29], v[1:2], v[15:16]
	v_and_or_b32 v15, v16, s90, v15
	v_cmp_ne_u32_e32 vcc, 0, v15
	v_lshrrev_b32_e32 v17, 8, v16
	v_bfe_u32 v18, v16, 20, 11
	v_cndmask_b32_e64 v15, 0, 1, vcc
	v_sub_u32_e32 v19, 0x3f1, v18
	v_and_or_b32 v15, v17, s91, v15
	v_med3_i32 v17, v19, 0, 13
	v_or_b32_e32 v19, 0x1000, v15
	v_lshrrev_b32_e32 v21, v17, v19
	v_add_u32_e32 v18, 0xfffffc10, v18
	v_cmp_ne_u32_e32 vcc, 0, v15
	v_lshlrev_b32_e32 v17, v17, v21
	v_lshl_or_b32 v20, v18, 12, v15
	v_cndmask_b32_e32 v15, v11, v12, vcc
	v_cmp_ne_u32_e32 vcc, v17, v19
	v_cndmask_b32_e64 v17, 0, 1, vcc
	v_or_b32_e32 v17, v21, v17
	v_cmp_gt_i32_e32 vcc, 1, v18
	v_cndmask_b32_e32 v17, v20, v17, vcc
	v_and_b32_e32 v19, 7, v17
	v_cmp_lt_i32_e32 vcc, 5, v19
	v_cndmask_b32_e64 v20, 0, 1, vcc
	v_cmp_eq_u32_e32 vcc, 3, v19
	v_cndmask_b32_e64 v19, 0, 1, vcc
	v_lshrrev_b32_e32 v17, 2, v17
	v_or_b32_e32 v19, v19, v20
	v_add_u32_e32 v17, v17, v19
	v_cmp_gt_i32_e32 vcc, 31, v18
	v_cndmask_b32_e32 v17, v11, v17, vcc
	v_cmp_eq_u32_e32 vcc, s92, v18
	v_lshrrev_b32_e32 v16, 16, v16
	v_cndmask_b32_e32 v15, v17, v15, vcc
	v_and_or_b32 v15, v16, s93, v15
	global_store_short v[13:14], v15, off
.LBB83_21:                              ;   in Loop: Header=BB83_3 Depth=1
	s_andn2_b64 vcc, exec, s[0:1]
	s_cbranch_vccnz .LBB83_2
; %bb.22:                               ;   in Loop: Header=BB83_3 Depth=1
	v_and_or_b32 v1, v2, s90, v1
	v_cmp_ne_u32_e32 vcc, 0, v1
	v_cndmask_b32_e64 v1, 0, 1, vcc
	v_lshrrev_b32_e32 v13, 8, v2
	v_bfe_u32 v14, v2, 20, 11
	v_and_or_b32 v1, v13, s91, v1
	v_sub_u32_e32 v15, 0x3f1, v14
	v_or_b32_e32 v13, 0x1000, v1
	v_med3_i32 v15, v15, 0, 13
	v_lshrrev_b32_e32 v16, v15, v13
	v_lshlrev_b32_e32 v15, v15, v16
	v_cmp_ne_u32_e32 vcc, v15, v13
	v_cndmask_b32_e64 v13, 0, 1, vcc
	v_add_u32_e32 v14, 0xfffffc10, v14
	v_or_b32_e32 v13, v16, v13
	v_lshl_or_b32 v15, v14, 12, v1
	v_cmp_gt_i32_e32 vcc, 1, v14
	v_cndmask_b32_e32 v13, v15, v13, vcc
	v_and_b32_e32 v15, 7, v13
	v_cmp_lt_i32_e32 vcc, 5, v15
	v_cndmask_b32_e64 v16, 0, 1, vcc
	v_cmp_eq_u32_e32 vcc, 3, v15
	v_cndmask_b32_e64 v15, 0, 1, vcc
	v_or_b32_e32 v15, v15, v16
	v_lshrrev_b32_e32 v13, 2, v13
	v_add_u32_e32 v13, v13, v15
	v_cmp_gt_i32_e32 vcc, 31, v14
	v_cndmask_b32_e32 v13, v11, v13, vcc
	v_cmp_ne_u32_e32 vcc, 0, v1
	v_cndmask_b32_e32 v1, v11, v12, vcc
	v_cmp_eq_u32_e32 vcc, s92, v14
	v_cndmask_b32_e32 v1, v13, v1, vcc
	v_lshrrev_b32_e32 v2, 16, v2
	v_and_or_b32 v13, v2, s93, v1
	v_lshlrev_b64 v[1:2], 1, v[3:4]
	v_mov_b32_e32 v3, s80
	v_add_co_u32_e32 v1, vcc, s79, v1
	v_addc_co_u32_e32 v2, vcc, v3, v2, vcc
	global_store_short v[1:2], v13, off
	s_branch .LBB83_2
.LBB83_23:
	s_endpgm
	.section	.rodata,"a",@progbits
	.p2align	6, 0x0
	.amdhsa_kernel naive_conv_ab_nonpacked_wrw_ncdhw_half_double_half
		.amdhsa_group_segment_fixed_size 0
		.amdhsa_private_segment_fixed_size 0
		.amdhsa_kernarg_size 528
		.amdhsa_user_sgpr_count 6
		.amdhsa_user_sgpr_private_segment_buffer 1
		.amdhsa_user_sgpr_dispatch_ptr 0
		.amdhsa_user_sgpr_queue_ptr 0
		.amdhsa_user_sgpr_kernarg_segment_ptr 1
		.amdhsa_user_sgpr_dispatch_id 0
		.amdhsa_user_sgpr_flat_scratch_init 0
		.amdhsa_user_sgpr_private_segment_size 0
		.amdhsa_uses_dynamic_stack 0
		.amdhsa_system_sgpr_private_segment_wavefront_offset 0
		.amdhsa_system_sgpr_workgroup_id_x 1
		.amdhsa_system_sgpr_workgroup_id_y 0
		.amdhsa_system_sgpr_workgroup_id_z 0
		.amdhsa_system_sgpr_workgroup_info 0
		.amdhsa_system_vgpr_workitem_id 0
		.amdhsa_next_free_vgpr 33
		.amdhsa_next_free_sgpr 96
		.amdhsa_reserve_vcc 1
		.amdhsa_reserve_flat_scratch 0
		.amdhsa_float_round_mode_32 0
		.amdhsa_float_round_mode_16_64 0
		.amdhsa_float_denorm_mode_32 3
		.amdhsa_float_denorm_mode_16_64 3
		.amdhsa_dx10_clamp 1
		.amdhsa_ieee_mode 1
		.amdhsa_fp16_overflow 0
		.amdhsa_exception_fp_ieee_invalid_op 0
		.amdhsa_exception_fp_denorm_src 0
		.amdhsa_exception_fp_ieee_div_zero 0
		.amdhsa_exception_fp_ieee_overflow 0
		.amdhsa_exception_fp_ieee_underflow 0
		.amdhsa_exception_fp_ieee_inexact 0
		.amdhsa_exception_int_div_zero 0
	.end_amdhsa_kernel
	.text
.Lfunc_end83:
	.size	naive_conv_ab_nonpacked_wrw_ncdhw_half_double_half, .Lfunc_end83-naive_conv_ab_nonpacked_wrw_ncdhw_half_double_half
                                        ; -- End function
	.set naive_conv_ab_nonpacked_wrw_ncdhw_half_double_half.num_vgpr, 33
	.set naive_conv_ab_nonpacked_wrw_ncdhw_half_double_half.num_agpr, 0
	.set naive_conv_ab_nonpacked_wrw_ncdhw_half_double_half.numbered_sgpr, 96
	.set naive_conv_ab_nonpacked_wrw_ncdhw_half_double_half.num_named_barrier, 0
	.set naive_conv_ab_nonpacked_wrw_ncdhw_half_double_half.private_seg_size, 0
	.set naive_conv_ab_nonpacked_wrw_ncdhw_half_double_half.uses_vcc, 1
	.set naive_conv_ab_nonpacked_wrw_ncdhw_half_double_half.uses_flat_scratch, 0
	.set naive_conv_ab_nonpacked_wrw_ncdhw_half_double_half.has_dyn_sized_stack, 0
	.set naive_conv_ab_nonpacked_wrw_ncdhw_half_double_half.has_recursion, 0
	.set naive_conv_ab_nonpacked_wrw_ncdhw_half_double_half.has_indirect_call, 0
	.section	.AMDGPU.csdata,"",@progbits
; Kernel info:
; codeLenInByte = 2420
; TotalNumSgprs: 100
; NumVgprs: 33
; ScratchSize: 0
; MemoryBound: 0
; FloatMode: 240
; IeeeMode: 1
; LDSByteSize: 0 bytes/workgroup (compile time only)
; SGPRBlocks: 12
; VGPRBlocks: 8
; NumSGPRsForWavesPerEU: 100
; NumVGPRsForWavesPerEU: 33
; Occupancy: 7
; WaveLimiterHint : 0
; COMPUTE_PGM_RSRC2:SCRATCH_EN: 0
; COMPUTE_PGM_RSRC2:USER_SGPR: 6
; COMPUTE_PGM_RSRC2:TRAP_HANDLER: 0
; COMPUTE_PGM_RSRC2:TGID_X_EN: 1
; COMPUTE_PGM_RSRC2:TGID_Y_EN: 0
; COMPUTE_PGM_RSRC2:TGID_Z_EN: 0
; COMPUTE_PGM_RSRC2:TIDIG_COMP_CNT: 0
	.text
	.protected	naive_conv_ab_packed_wrw_ncdhw_ushort_double_ushort ; -- Begin function naive_conv_ab_packed_wrw_ncdhw_ushort_double_ushort
	.globl	naive_conv_ab_packed_wrw_ncdhw_ushort_double_ushort
	.p2align	8
	.type	naive_conv_ab_packed_wrw_ncdhw_ushort_double_ushort,@function
naive_conv_ab_packed_wrw_ncdhw_ushort_double_ushort: ; @naive_conv_ab_packed_wrw_ncdhw_ushort_double_ushort
; %bb.0:
	s_load_dwordx16 s[8:23], s[4:5], 0xb8
	s_load_dwordx2 s[0:1], s[4:5], 0x108
	s_load_dwordx4 s[36:39], s[4:5], 0xf8
	s_waitcnt lgkmcnt(0)
	s_abs_i32 s3, s12
	v_cvt_f32_u32_e32 v1, s3
	s_mul_i32 s44, s0, s39
	s_mul_i32 s2, s44, s38
	;; [unrolled: 1-line block ×3, first 2 shown]
	v_rcp_iflag_f32_e32 v1, v1
	v_cmp_gt_i32_e32 vcc, s33, v0
	v_mul_f32_e32 v1, 0x4f7ffffe, v1
	v_cvt_u32_f32_e32 v1, v1
	v_readfirstlane_b32 s7, v1
	s_and_saveexec_b64 s[24:25], vcc
	s_cbranch_execz .LBB84_23
; %bb.1:
	s_sub_i32 s41, 0, s3
	s_mul_i32 s41, s41, s7
	s_mul_hi_u32 s41, s7, s41
	s_abs_i32 s40, s6
	s_add_i32 s7, s7, s41
	s_ashr_i32 s34, s6, 31
	s_ashr_i32 s35, s12, 31
	s_mul_hi_u32 s7, s40, s7
	s_xor_b32 s34, s34, s35
	s_mul_i32 s35, s7, s3
	s_sub_i32 s35, s40, s35
	s_add_i32 s40, s7, 1
	s_sub_i32 s41, s35, s3
	s_cmp_ge_u32 s35, s3
	s_cselect_b32 s7, s40, s7
	s_cselect_b32 s35, s41, s35
	s_add_i32 s40, s7, 1
	s_cmp_ge_u32 s35, s3
	s_cselect_b32 s3, s40, s7
	s_ashr_i32 s56, s10, 31
	s_mul_i32 s41, s9, s8
	s_mul_hi_i32 s40, s9, s8
	s_mul_i32 s42, s41, s56
	s_mul_hi_u32 s43, s41, s10
	s_xor_b32 s3, s3, s34
	s_ashr_i32 s7, s13, 31
	s_add_i32 s42, s43, s42
	s_mul_i32 s40, s40, s10
	s_mul_i32 s41, s41, s10
	s_sub_i32 s3, s3, s34
	s_add_i32 s40, s42, s40
	s_mul_i32 s7, s41, s7
	s_mul_hi_u32 s42, s41, s13
	s_mul_i32 s34, s3, s12
	s_add_i32 s7, s42, s7
	s_mul_i32 s40, s40, s13
	s_load_dwordx8 s[24:31], s[4:5], 0x0
	s_sub_i32 s35, s6, s34
	s_ashr_i32 s6, s3, 31
	s_add_i32 s7, s7, s40
	s_mul_i32 s40, s41, s13
	s_mul_i32 s6, s40, s6
	s_mul_hi_u32 s41, s40, s3
	s_mul_i32 s7, s7, s3
	s_add_i32 s6, s41, s6
	s_add_i32 s7, s6, s7
	s_mul_i32 s6, s40, s3
	s_ashr_i32 s54, s8, 31
	s_ashr_i32 s55, s9, 31
	s_lshl_b64 s[6:7], s[6:7], 1
	s_waitcnt lgkmcnt(0)
	s_add_u32 s57, s24, s6
	s_addc_u32 s58, s25, s7
	s_ashr_i32 s59, s38, 31
	s_ashr_i32 s60, s39, 31
	s_ashr_i32 s61, s0, 31
	s_ashr_i32 s6, s35, 31
	s_mul_hi_i32 s3, s3, s12
	s_add_u32 s45, s34, s35
	s_addc_u32 s46, s3, s6
	s_mul_i32 s6, s38, s13
	s_mul_hi_i32 s3, s38, s13
	s_mul_i32 s7, s6, s60
	s_mul_hi_u32 s24, s6, s39
	s_add_i32 s7, s24, s7
	s_mul_i32 s3, s3, s39
	s_mul_i32 s6, s6, s39
	s_add_i32 s3, s7, s3
	s_mul_i32 s7, s6, s61
	s_mul_hi_u32 s24, s6, s0
	s_add_i32 s7, s24, s7
	s_mul_i32 s3, s3, s0
	s_mul_i32 s6, s6, s0
	s_add_i32 s3, s7, s3
	s_mul_i32 s7, s6, s46
	s_mul_hi_u32 s24, s6, s45
	s_add_i32 s7, s24, s7
	s_mul_i32 s3, s3, s45
	s_add_i32 s7, s7, s3
	s_mul_i32 s6, s6, s45
	s_lshl_b64 s[6:7], s[6:7], 1
	s_add_u32 s62, s26, s6
	s_addc_u32 s63, s27, s7
	s_ashr_i32 s47, s14, 31
	s_ashr_i32 s3, s16, 31
	s_cmp_lt_i32 s11, 1
	s_cselect_b64 s[6:7], -1, 0
	s_cmp_gt_i32 s14, 0
	s_cselect_b64 s[24:25], -1, 0
	s_cmp_gt_i32 s15, 0
	;; [unrolled: 2-line block ×3, first 2 shown]
	s_cselect_b64 s[34:35], -1, 0
	s_abs_i32 s72, s39
	v_cvt_f32_u32_e32 v2, s72
	v_cmp_neq_f64_e64 s[40:41], s[28:29], 1.0
	v_cmp_neq_f64_e64 s[42:43], s[30:31], 0
	s_abs_i32 s71, s0
	v_rcp_iflag_f32_e32 v2, v2
	v_cvt_f32_u32_e32 v1, s71
	s_abs_i32 s73, s38
	s_abs_i32 s66, s44
	v_mul_f32_e32 v2, 0x4f7ffffe, v2
	s_abs_i32 s68, s2
	s_or_b64 s[40:41], s[40:41], s[42:43]
	s_mul_i32 s42, s16, s15
	v_cvt_u32_f32_e32 v5, v2
	v_cvt_f32_u32_e32 v2, s73
	s_mul_i32 s48, s42, s14
	v_rcp_iflag_f32_e32 v1, v1
	v_cvt_f32_u32_e32 v4, s66
	v_cvt_f32_u32_e32 v6, s68
	s_mul_i32 s43, s48, s46
	s_mul_hi_u32 s46, s48, s45
	s_add_i32 s46, s46, s43
	s_mul_i32 s43, s42, s47
	s_mul_hi_u32 s47, s42, s14
	s_add_i32 s47, s47, s43
	s_mul_hi_i32 s43, s16, s15
	v_rcp_iflag_f32_e32 v2, v2
	s_mul_i32 s49, s43, s14
	v_mul_f32_e32 v1, 0x4f7ffffe, v1
	v_rcp_iflag_f32_e32 v4, v4
	v_rcp_iflag_f32_e32 v6, v6
	s_add_i32 s49, s47, s49
	v_cvt_u32_f32_e32 v1, v1
	s_mul_i32 s47, s49, s45
	s_load_dword s50, s[4:5], 0x11c
	s_add_i32 s47, s46, s47
	s_mul_i32 s46, s48, s45
	v_mul_f32_e32 v2, 0x4f7ffffe, v2
	s_ashr_i32 s65, s44, 31
	s_lshl_b64 s[44:45], s[46:47], 1
	s_sub_i32 s46, 0, s71
	v_mul_f32_e32 v4, 0x4f7ffffe, v4
	v_cvt_u32_f32_e32 v8, v2
	v_mul_f32_e32 v2, 0x4f7ffffe, v6
	v_mul_lo_u32 v3, s46, v1
	v_cvt_u32_f32_e32 v4, v4
	v_cvt_u32_f32_e32 v6, v2
	s_waitcnt lgkmcnt(0)
	s_and_b32 s64, s50, 0xffff
	s_sub_i32 s47, 0, s72
	s_sub_i32 s50, 0, s66
	;; [unrolled: 1-line block ×4, first 2 shown]
	s_load_dwordx2 s[4:5], s[4:5], 0x20
	v_mul_lo_u32 v7, s47, v5
	v_mul_lo_u32 v9, s50, v4
	v_mul_hi_u32 v2, v1, v3
	v_mul_lo_u32 v3, s51, v8
	v_mul_lo_u32 v10, s52, v6
	s_mul_i32 s69, s1, s13
	s_mul_i32 s1, s1, s12
	s_ashr_i32 s67, s2, 31
	s_ashr_i32 s70, s69, 31
	;; [unrolled: 1-line block ×3, first 2 shown]
	v_add_u32_e32 v14, v1, v2
	v_mul_hi_u32 v1, v5, v7
	v_mul_hi_u32 v7, v4, v9
	;; [unrolled: 1-line block ×4, first 2 shown]
	s_waitcnt lgkmcnt(0)
	s_add_u32 s4, s4, s44
	s_mul_i32 s2, s48, s2
	s_mul_hi_u32 s12, s48, s1
	s_addc_u32 s5, s5, s45
	s_add_i32 s2, s12, s2
	s_mul_i32 s49, s49, s1
	s_add_i32 s13, s2, s49
	s_mul_i32 s12, s48, s1
	s_mov_b32 s2, s16
	s_mov_b32 s74, s0
	v_mov_b32_e32 v2, 0
	v_add_u32_e32 v15, v5, v1
	v_add_u32_e32 v16, v4, v7
	;; [unrolled: 1-line block ×4, first 2 shown]
	s_lshl_b64 s[12:13], s[12:13], 1
	s_lshl_b64 s[42:43], s[42:43], 1
	;; [unrolled: 1-line block ×3, first 2 shown]
	s_mov_b32 s75, s8
	s_mov_b32 s76, s9
	;; [unrolled: 1-line block ×4, first 2 shown]
	s_sub_i32 s37, 0, s37
	s_mov_b32 s79, 0x7f800000
	s_mov_b64 s[8:9], 0
	s_branch .LBB84_3
.LBB84_2:                               ;   in Loop: Header=BB84_3 Depth=1
	v_add_u32_e32 v0, s64, v0
	v_cmp_le_i32_e32 vcc, s33, v0
	s_or_b64 s[8:9], vcc, s[8:9]
	s_andn2_b64 exec, exec, s[8:9]
	s_cbranch_execz .LBB84_23
.LBB84_3:                               ; =>This Loop Header: Depth=1
                                        ;     Child Loop BB84_8 Depth 2
                                        ;       Child Loop BB84_11 Depth 3
                                        ;         Child Loop BB84_14 Depth 4
                                        ;           Child Loop BB84_17 Depth 5
	v_sub_u32_e32 v1, 0, v0
	v_max_i32_e32 v5, v0, v1
	v_mul_hi_u32 v1, v5, v14
	v_ashrrev_i32_e32 v6, 31, v0
	v_xor_b32_e32 v4, s61, v6
	s_mov_b64 s[38:39], -1
	v_mul_lo_u32 v3, v1, s71
	v_add_u32_e32 v7, 1, v1
	v_sub_u32_e32 v3, v5, v3
	v_cmp_le_u32_e32 vcc, s71, v3
	v_cndmask_b32_e32 v1, v1, v7, vcc
	v_subrev_u32_e32 v7, s71, v3
	v_cndmask_b32_e32 v3, v3, v7, vcc
	v_add_u32_e32 v7, 1, v1
	v_cmp_le_u32_e32 vcc, s71, v3
	v_cndmask_b32_e32 v1, v1, v7, vcc
	v_xor_b32_e32 v1, v1, v4
	v_sub_u32_e32 v1, v1, v4
	v_mul_hi_u32 v4, v5, v16
	v_sub_u32_e32 v3, 0, v1
	v_max_i32_e32 v7, v1, v3
	v_mul_hi_u32 v3, v7, v15
	v_mul_lo_u32 v8, v4, s66
	v_add_u32_e32 v10, 1, v4
	v_mul_lo_u32 v9, v3, s72
	v_sub_u32_e32 v8, v5, v8
	v_cmp_le_u32_e32 vcc, s66, v8
	v_cndmask_b32_e32 v4, v4, v10, vcc
	v_subrev_u32_e32 v10, s66, v8
	v_cndmask_b32_e32 v8, v8, v10, vcc
	v_add_u32_e32 v10, 1, v4
	v_cmp_le_u32_e32 vcc, s66, v8
	v_xor_b32_e32 v3, s65, v6
	v_cndmask_b32_e32 v4, v4, v10, vcc
	v_xor_b32_e32 v4, v4, v3
	v_sub_u32_e32 v3, v4, v3
	v_sub_u32_e32 v4, 0, v3
	v_max_i32_e32 v8, v3, v4
	v_mul_hi_u32 v4, v8, v17
	v_sub_u32_e32 v7, v7, v9
	v_subrev_u32_e32 v9, s72, v7
	v_cmp_le_u32_e32 vcc, s72, v7
	v_mul_lo_u32 v10, v4, s73
	v_cndmask_b32_e32 v4, v7, v9, vcc
	v_mul_hi_u32 v7, v5, v18
	v_xor_b32_e32 v6, s67, v6
	v_sub_u32_e32 v8, v8, v10
	v_subrev_u32_e32 v9, s73, v8
	v_mul_lo_u32 v10, v7, s68
	v_cmp_le_u32_e32 vcc, s73, v8
	v_cndmask_b32_e32 v9, v8, v9, vcc
	v_add_u32_e32 v8, 1, v7
	v_sub_u32_e32 v5, v5, v10
	v_cmp_le_u32_e32 vcc, s68, v5
	v_cndmask_b32_e32 v7, v7, v8, vcc
	v_subrev_u32_e32 v8, s68, v5
	v_cndmask_b32_e32 v5, v5, v8, vcc
	v_add_u32_e32 v8, 1, v7
	v_cmp_le_u32_e32 vcc, s68, v5
	v_cndmask_b32_e32 v5, v7, v8, vcc
	v_xor_b32_e32 v5, v5, v6
	v_cmp_le_u32_e64 s[0:1], s72, v4
	v_cmp_le_u32_e64 s[2:3], s73, v9
	v_sub_u32_e32 v5, v5, v6
	s_andn2_b64 vcc, exec, s[6:7]
	s_cbranch_vccnz .LBB84_5
; %bb.4:                                ;   in Loop: Header=BB84_3 Depth=1
	v_ashrrev_i32_e32 v6, 31, v5
	s_mov_b64 s[38:39], 0
.LBB84_5:                               ;   in Loop: Header=BB84_3 Depth=1
	v_subrev_u32_e32 v8, s72, v4
	v_mul_lo_u32 v7, v1, s74
	v_ashrrev_i32_e32 v1, 31, v1
	v_cndmask_b32_e64 v4, v4, v8, s[0:1]
	v_xor_b32_e32 v4, v4, v1
	v_sub_u32_e32 v8, v4, v1
	v_ashrrev_i32_e32 v1, 31, v3
	v_subrev_u32_e32 v3, s73, v9
	v_cndmask_b32_e64 v3, v9, v3, s[2:3]
	v_xor_b32_e32 v9, v3, v1
	v_mov_b32_e32 v3, 0
	v_sub_u32_e32 v7, v0, v7
	v_mov_b32_e32 v4, 0
	s_andn2_b64 vcc, exec, s[38:39]
	v_sub_u32_e32 v9, v9, v1
	s_cbranch_vccnz .LBB84_19
; %bb.6:                                ;   in Loop: Header=BB84_3 Depth=1
	v_mul_lo_u32 v1, v7, s22
	v_mul_lo_u32 v19, v9, s20
	v_mul_lo_u32 v20, v8, s21
	v_mov_b32_e32 v3, 0
	v_ashrrev_i32_e32 v6, 31, v5
	v_add_u32_e32 v21, s37, v1
	s_mov_b32 s80, 0
	v_mov_b32_e32 v4, 0
	s_mov_b64 s[2:3], s[4:5]
	s_branch .LBB84_8
.LBB84_7:                               ;   in Loop: Header=BB84_8 Depth=2
	s_add_i32 s80, s80, 1
	s_add_u32 s2, s2, s12
	s_addc_u32 s3, s3, s13
	s_cmp_eq_u32 s80, s11
	s_cbranch_scc1 .LBB84_19
.LBB84_8:                               ;   Parent Loop BB84_3 Depth=1
                                        ; =>  This Loop Header: Depth=2
                                        ;       Child Loop BB84_11 Depth 3
                                        ;         Child Loop BB84_14 Depth 4
                                        ;           Child Loop BB84_17 Depth 5
	s_andn2_b64 vcc, exec, s[24:25]
	s_cbranch_vccnz .LBB84_7
; %bb.9:                                ;   in Loop: Header=BB84_8 Depth=2
	v_mov_b32_e32 v1, s69
	v_mad_u64_u32 v[10:11], s[0:1], s80, v1, v[5:6]
	s_mul_i32 s0, s80, s70
	s_mov_b32 s81, 0
	v_add_u32_e32 v1, s0, v11
	v_mul_lo_u32 v12, v10, s54
	v_mad_u64_u32 v[10:11], s[0:1], v10, s75, 0
	v_mul_lo_u32 v1, v1, s75
	s_mov_b64 s[38:39], s[2:3]
	v_add3_u32 v11, v11, v12, v1
	s_branch .LBB84_11
.LBB84_10:                              ;   in Loop: Header=BB84_11 Depth=3
	s_add_i32 s81, s81, 1
	s_add_u32 s38, s38, s42
	s_addc_u32 s39, s39, s43
	s_cmp_eq_u32 s81, s14
	s_cbranch_scc1 .LBB84_7
.LBB84_11:                              ;   Parent Loop BB84_3 Depth=1
                                        ;     Parent Loop BB84_8 Depth=2
                                        ; =>    This Loop Header: Depth=3
                                        ;         Child Loop BB84_14 Depth 4
                                        ;           Child Loop BB84_17 Depth 5
	s_andn2_b64 vcc, exec, s[26:27]
	s_cbranch_vccnz .LBB84_10
; %bb.12:                               ;   in Loop: Header=BB84_11 Depth=3
	s_mul_i32 s0, s81, s17
	s_sub_i32 s0, s0, s23
	v_add_u32_e32 v1, s0, v19
	v_add_co_u32_e32 v12, vcc, v10, v1
	v_addc_co_u32_e32 v13, vcc, 0, v11, vcc
	v_mul_lo_u32 v22, v13, s76
	v_mul_lo_u32 v23, v12, s55
	v_mad_u64_u32 v[12:13], s[0:1], v12, s76, 0
	v_cmp_gt_i32_e32 vcc, 0, v1
	v_cmp_le_i32_e64 s[0:1], s75, v1
	s_mov_b32 s82, 0
	s_or_b64 s[46:47], vcc, s[0:1]
	v_add3_u32 v13, v13, v23, v22
	s_mov_b64 s[48:49], s[38:39]
	s_branch .LBB84_14
.LBB84_13:                              ;   in Loop: Header=BB84_14 Depth=4
	s_add_i32 s82, s82, 1
	s_add_u32 s48, s48, s44
	s_addc_u32 s49, s49, s45
	s_cmp_eq_u32 s82, s15
	s_cbranch_scc1 .LBB84_10
.LBB84_14:                              ;   Parent Loop BB84_3 Depth=1
                                        ;     Parent Loop BB84_8 Depth=2
                                        ;       Parent Loop BB84_11 Depth=3
                                        ; =>      This Loop Header: Depth=4
                                        ;           Child Loop BB84_17 Depth 5
	s_andn2_b64 vcc, exec, s[34:35]
	s_cbranch_vccnz .LBB84_13
; %bb.15:                               ;   in Loop: Header=BB84_14 Depth=4
	s_mul_i32 s0, s82, s18
	s_sub_i32 s0, s0, s36
	v_add_u32_e32 v1, s0, v20
	v_add_co_u32_e64 v22, s[0:1], v12, v1
	v_addc_co_u32_e64 v23, s[0:1], 0, v13, s[0:1]
	v_mul_lo_u32 v24, v23, s10
	v_mul_lo_u32 v25, v22, s56
	v_mad_u64_u32 v[22:23], s[0:1], v22, s10, 0
	v_cmp_gt_i32_e32 vcc, 0, v1
	v_cmp_le_i32_e64 s[0:1], s76, v1
	v_add3_u32 v23, v23, v25, v24
	v_lshlrev_b64 v[22:23], 1, v[22:23]
	s_or_b64 s[0:1], vcc, s[0:1]
	v_mov_b32_e32 v1, s58
	v_add_co_u32_e32 v22, vcc, s57, v22
	s_or_b64 s[50:51], s[46:47], s[0:1]
	v_addc_co_u32_e32 v23, vcc, v1, v23, vcc
	v_mov_b32_e32 v1, v21
	s_mov_b64 s[52:53], s[48:49]
	s_mov_b32 s83, s16
	s_branch .LBB84_17
.LBB84_16:                              ;   in Loop: Header=BB84_17 Depth=5
	s_or_b64 exec, exec, s[0:1]
	s_add_i32 s83, s83, -1
	s_add_u32 s52, s52, 2
	s_addc_u32 s53, s53, 0
	s_cmp_eq_u32 s83, 0
	v_add_u32_e32 v1, s19, v1
	s_cbranch_scc1 .LBB84_13
.LBB84_17:                              ;   Parent Loop BB84_3 Depth=1
                                        ;     Parent Loop BB84_8 Depth=2
                                        ;       Parent Loop BB84_11 Depth=3
                                        ;         Parent Loop BB84_14 Depth=4
                                        ; =>        This Inner Loop Header: Depth=5
	v_cmp_gt_i32_e32 vcc, 0, v1
	v_cmp_le_i32_e64 s[0:1], s10, v1
	s_or_b64 s[0:1], vcc, s[0:1]
	s_nor_b64 s[84:85], s[50:51], s[0:1]
	s_and_saveexec_b64 s[0:1], s[84:85]
	s_cbranch_execz .LBB84_16
; %bb.18:                               ;   in Loop: Header=BB84_17 Depth=5
	v_lshlrev_b64 v[24:25], 1, v[1:2]
	v_add_co_u32_e32 v24, vcc, v22, v24
	v_addc_co_u32_e32 v25, vcc, v23, v25, vcc
	global_load_ushort v26, v2, s[52:53]
	s_nop 0
	global_load_ushort v24, v[24:25], off
	s_waitcnt vmcnt(1)
	v_lshlrev_b32_e32 v25, 16, v26
	s_waitcnt vmcnt(0)
	v_lshlrev_b32_e32 v26, 16, v24
	v_cvt_f64_f32_e32 v[24:25], v25
	v_cvt_f64_f32_e32 v[26:27], v26
	v_fma_f64 v[3:4], v[26:27], v[24:25], v[3:4]
	s_branch .LBB84_16
.LBB84_19:                              ;   in Loop: Header=BB84_3 Depth=1
	v_ashrrev_i32_e32 v10, 31, v9
	v_mul_lo_u32 v1, v5, s59
	v_mul_lo_u32 v11, v6, s77
	v_mad_u64_u32 v[5:6], s[0:1], v5, s77, v[9:10]
	v_ashrrev_i32_e32 v9, 31, v8
	s_and_b64 vcc, exec, s[40:41]
	v_add3_u32 v1, v11, v6, v1
	v_mul_lo_u32 v1, v1, s78
	v_mad_u64_u32 v[9:10], s[0:1], v5, s78, v[8:9]
	v_mul_lo_u32 v5, v5, s60
	v_ashrrev_i32_e32 v8, 31, v7
	v_add3_u32 v1, v1, v10, v5
	v_mul_lo_u32 v1, v1, s74
	v_mul_lo_u32 v10, v9, s61
	v_mad_u64_u32 v[5:6], s[0:1], v9, s74, v[7:8]
	s_mov_b64 s[0:1], -1
	v_add3_u32 v6, v1, v6, v10
	s_cbranch_vccz .LBB84_21
; %bb.20:                               ;   in Loop: Header=BB84_3 Depth=1
	v_lshlrev_b64 v[7:8], 1, v[5:6]
	v_mov_b32_e32 v1, s63
	v_add_co_u32_e32 v7, vcc, s62, v7
	v_addc_co_u32_e32 v8, vcc, v1, v8, vcc
	global_load_ushort v1, v[7:8], off
	s_waitcnt vmcnt(0)
	v_lshlrev_b32_e32 v1, 16, v1
	v_cvt_f64_f32_e32 v[9:10], v1
	v_mul_f64 v[9:10], s[30:31], v[9:10]
	v_fma_f64 v[9:10], s[28:29], v[3:4], v[9:10]
	v_cvt_f32_f64_e32 v1, v[9:10]
	v_and_b32_e32 v9, 0x7f800000, v1
	v_cmp_ne_u32_sdwa s[0:1], v1, v2 src0_sel:WORD_0 src1_sel:DWORD
	v_cmp_eq_u32_e32 vcc, s79, v9
	s_and_b64 s[0:1], vcc, s[0:1]
	v_cndmask_b32_e64 v9, 0, 1, s[0:1]
	v_or_b32_sdwa v1, v1, v9 dst_sel:DWORD dst_unused:UNUSED_PAD src0_sel:WORD_1 src1_sel:DWORD
	global_store_short v[7:8], v1, off
	s_mov_b64 s[0:1], 0
.LBB84_21:                              ;   in Loop: Header=BB84_3 Depth=1
	s_andn2_b64 vcc, exec, s[0:1]
	s_cbranch_vccnz .LBB84_2
; %bb.22:                               ;   in Loop: Header=BB84_3 Depth=1
	v_cvt_f32_f64_e32 v1, v[3:4]
	v_lshlrev_b64 v[3:4], 1, v[5:6]
	v_and_b32_e32 v5, 0x7f800000, v1
	v_cmp_ne_u32_sdwa s[0:1], v1, v2 src0_sel:WORD_0 src1_sel:DWORD
	v_cmp_eq_u32_e32 vcc, s79, v5
	s_and_b64 s[0:1], vcc, s[0:1]
	v_cndmask_b32_e64 v5, 0, 1, s[0:1]
	v_or_b32_sdwa v1, v1, v5 dst_sel:DWORD dst_unused:UNUSED_PAD src0_sel:WORD_1 src1_sel:DWORD
	v_mov_b32_e32 v5, s63
	v_add_co_u32_e32 v3, vcc, s62, v3
	v_addc_co_u32_e32 v4, vcc, v5, v4, vcc
	global_store_short v[3:4], v1, off
	s_branch .LBB84_2
.LBB84_23:
	s_endpgm
	.section	.rodata,"a",@progbits
	.p2align	6, 0x0
	.amdhsa_kernel naive_conv_ab_packed_wrw_ncdhw_ushort_double_ushort
		.amdhsa_group_segment_fixed_size 0
		.amdhsa_private_segment_fixed_size 0
		.amdhsa_kernarg_size 528
		.amdhsa_user_sgpr_count 6
		.amdhsa_user_sgpr_private_segment_buffer 1
		.amdhsa_user_sgpr_dispatch_ptr 0
		.amdhsa_user_sgpr_queue_ptr 0
		.amdhsa_user_sgpr_kernarg_segment_ptr 1
		.amdhsa_user_sgpr_dispatch_id 0
		.amdhsa_user_sgpr_flat_scratch_init 0
		.amdhsa_user_sgpr_private_segment_size 0
		.amdhsa_uses_dynamic_stack 0
		.amdhsa_system_sgpr_private_segment_wavefront_offset 0
		.amdhsa_system_sgpr_workgroup_id_x 1
		.amdhsa_system_sgpr_workgroup_id_y 0
		.amdhsa_system_sgpr_workgroup_id_z 0
		.amdhsa_system_sgpr_workgroup_info 0
		.amdhsa_system_vgpr_workitem_id 0
		.amdhsa_next_free_vgpr 28
		.amdhsa_next_free_sgpr 86
		.amdhsa_reserve_vcc 1
		.amdhsa_reserve_flat_scratch 0
		.amdhsa_float_round_mode_32 0
		.amdhsa_float_round_mode_16_64 0
		.amdhsa_float_denorm_mode_32 3
		.amdhsa_float_denorm_mode_16_64 3
		.amdhsa_dx10_clamp 1
		.amdhsa_ieee_mode 1
		.amdhsa_fp16_overflow 0
		.amdhsa_exception_fp_ieee_invalid_op 0
		.amdhsa_exception_fp_denorm_src 0
		.amdhsa_exception_fp_ieee_div_zero 0
		.amdhsa_exception_fp_ieee_overflow 0
		.amdhsa_exception_fp_ieee_underflow 0
		.amdhsa_exception_fp_ieee_inexact 0
		.amdhsa_exception_int_div_zero 0
	.end_amdhsa_kernel
	.text
.Lfunc_end84:
	.size	naive_conv_ab_packed_wrw_ncdhw_ushort_double_ushort, .Lfunc_end84-naive_conv_ab_packed_wrw_ncdhw_ushort_double_ushort
                                        ; -- End function
	.set naive_conv_ab_packed_wrw_ncdhw_ushort_double_ushort.num_vgpr, 28
	.set naive_conv_ab_packed_wrw_ncdhw_ushort_double_ushort.num_agpr, 0
	.set naive_conv_ab_packed_wrw_ncdhw_ushort_double_ushort.numbered_sgpr, 86
	.set naive_conv_ab_packed_wrw_ncdhw_ushort_double_ushort.num_named_barrier, 0
	.set naive_conv_ab_packed_wrw_ncdhw_ushort_double_ushort.private_seg_size, 0
	.set naive_conv_ab_packed_wrw_ncdhw_ushort_double_ushort.uses_vcc, 1
	.set naive_conv_ab_packed_wrw_ncdhw_ushort_double_ushort.uses_flat_scratch, 0
	.set naive_conv_ab_packed_wrw_ncdhw_ushort_double_ushort.has_dyn_sized_stack, 0
	.set naive_conv_ab_packed_wrw_ncdhw_ushort_double_ushort.has_recursion, 0
	.set naive_conv_ab_packed_wrw_ncdhw_ushort_double_ushort.has_indirect_call, 0
	.section	.AMDGPU.csdata,"",@progbits
; Kernel info:
; codeLenInByte = 2184
; TotalNumSgprs: 90
; NumVgprs: 28
; ScratchSize: 0
; MemoryBound: 0
; FloatMode: 240
; IeeeMode: 1
; LDSByteSize: 0 bytes/workgroup (compile time only)
; SGPRBlocks: 11
; VGPRBlocks: 6
; NumSGPRsForWavesPerEU: 90
; NumVGPRsForWavesPerEU: 28
; Occupancy: 8
; WaveLimiterHint : 0
; COMPUTE_PGM_RSRC2:SCRATCH_EN: 0
; COMPUTE_PGM_RSRC2:USER_SGPR: 6
; COMPUTE_PGM_RSRC2:TRAP_HANDLER: 0
; COMPUTE_PGM_RSRC2:TGID_X_EN: 1
; COMPUTE_PGM_RSRC2:TGID_Y_EN: 0
; COMPUTE_PGM_RSRC2:TGID_Z_EN: 0
; COMPUTE_PGM_RSRC2:TIDIG_COMP_CNT: 0
	.text
	.protected	naive_conv_ab_nonpacked_wrw_ncdhw_ushort_double_ushort ; -- Begin function naive_conv_ab_nonpacked_wrw_ncdhw_ushort_double_ushort
	.globl	naive_conv_ab_nonpacked_wrw_ncdhw_ushort_double_ushort
	.p2align	8
	.type	naive_conv_ab_nonpacked_wrw_ncdhw_ushort_double_ushort,@function
naive_conv_ab_nonpacked_wrw_ncdhw_ushort_double_ushort: ; @naive_conv_ab_nonpacked_wrw_ncdhw_ushort_double_ushort
; %bb.0:
	s_load_dwordx16 s[8:23], s[4:5], 0xb8
	s_load_dword s33, s[4:5], 0x108
	s_load_dwordx4 s[68:71], s[4:5], 0xf8
	s_waitcnt lgkmcnt(0)
	s_abs_i32 s0, s12
	v_cvt_f32_u32_e32 v1, s0
	s_mul_i32 s73, s33, s71
	s_mul_i32 s72, s73, s70
	;; [unrolled: 1-line block ×3, first 2 shown]
	v_rcp_iflag_f32_e32 v1, v1
	v_cmp_gt_i32_e32 vcc, s76, v0
	v_mul_f32_e32 v1, 0x4f7ffffe, v1
	v_cvt_u32_f32_e32 v1, v1
	v_readfirstlane_b32 s1, v1
	s_and_saveexec_b64 s[2:3], vcc
	s_cbranch_execz .LBB85_23
; %bb.1:
	s_sub_i32 s13, 0, s0
	s_mul_i32 s13, s13, s1
	s_mul_hi_u32 s13, s1, s13
	s_abs_i32 s7, s6
	s_add_i32 s1, s1, s13
	s_ashr_i32 s2, s6, 31
	s_ashr_i32 s3, s12, 31
	s_mul_hi_u32 s1, s7, s1
	s_xor_b32 s2, s2, s3
	s_mul_i32 s3, s1, s0
	s_sub_i32 s3, s7, s3
	s_add_i32 s7, s1, 1
	s_sub_i32 s13, s3, s0
	s_cmp_ge_u32 s3, s0
	s_cselect_b32 s1, s7, s1
	s_cselect_b32 s3, s13, s3
	s_add_i32 s7, s1, 1
	s_load_dwordx16 s[36:51], s[4:5], 0x28
	s_cmp_ge_u32 s3, s0
	s_cselect_b32 s0, s7, s1
	s_xor_b32 s0, s0, s2
	s_sub_i32 s7, s0, s2
	s_load_dwordx8 s[24:31], s[4:5], 0x0
	s_mul_i32 s0, s7, s12
	s_ashr_i32 s12, s7, 31
	s_sub_i32 s6, s6, s0
	s_waitcnt lgkmcnt(0)
	s_mul_i32 s0, s44, s12
	s_mul_hi_u32 s1, s44, s7
	s_load_dwordx16 s[52:67], s[4:5], 0x68
	s_add_i32 s0, s1, s0
	s_mul_i32 s1, s45, s7
	s_add_i32 s1, s0, s1
	s_mul_i32 s0, s44, s7
	s_lshl_b64 s[0:1], s[0:1], 1
	s_add_u32 s77, s24, s0
	s_addc_u32 s78, s25, s1
	s_waitcnt lgkmcnt(0)
	s_mul_i32 s0, s58, s12
	s_mul_hi_u32 s1, s58, s7
	s_ashr_i32 s13, s6, 31
	s_add_i32 s0, s1, s0
	s_mul_i32 s1, s56, s13
	s_mul_hi_u32 s2, s56, s6
	s_add_i32 s2, s2, s1
	s_mul_i32 s1, s59, s7
	s_add_i32 s1, s0, s1
	s_mul_i32 s0, s58, s7
	s_mul_i32 s3, s57, s6
	s_add_i32 s3, s2, s3
	s_lshl_b64 s[0:1], s[0:1], 1
	s_add_u32 s24, s26, s0
	s_mul_i32 s2, s56, s6
	s_addc_u32 s25, s27, s1
	s_lshl_b64 s[0:1], s[2:3], 1
	s_add_u32 s79, s24, s0
	s_addc_u32 s80, s25, s1
	s_load_dwordx4 s[0:3], s[4:5], 0xa8
	v_cmp_neq_f64_e64 s[44:45], s[30:31], 0
	v_mov_b32_e32 v6, 0
	s_mov_b32 s90, 0x7f800000
	s_waitcnt lgkmcnt(0)
	s_mul_i32 s12, s0, s12
	s_mul_hi_u32 s24, s0, s7
	s_add_i32 s12, s24, s12
	s_mul_i32 s1, s1, s7
	s_add_i32 s1, s12, s1
	s_mul_i32 s0, s0, s7
	s_mul_i32 s7, s66, s13
	s_mul_hi_u32 s12, s66, s6
	s_add_i32 s7, s12, s7
	s_mul_i32 s12, s67, s6
	s_add_i32 s7, s7, s12
	s_load_dwordx2 s[12:13], s[4:5], 0x20
	s_lshl_b64 s[0:1], s[0:1], 1
	s_mul_i32 s6, s66, s6
	s_waitcnt lgkmcnt(0)
	s_add_u32 s12, s12, s0
	s_addc_u32 s13, s13, s1
	s_lshl_b64 s[0:1], s[6:7], 1
	s_add_u32 s6, s12, s0
	s_addc_u32 s7, s13, s1
	s_cmp_lt_i32 s11, 1
	s_cselect_b64 s[12:13], -1, 0
	s_cmp_gt_i32 s14, 0
	s_cselect_b64 s[24:25], -1, 0
	s_cmp_gt_i32 s15, 0
	s_cselect_b64 s[26:27], -1, 0
	s_cmp_gt_i32 s16, 0
	s_cselect_b64 s[34:35], -1, 0
	s_abs_i32 s83, s73
	v_cvt_f32_u32_e32 v5, s83
	s_abs_i32 s84, s70
	s_abs_i32 s81, s33
	v_cvt_f32_u32_e32 v1, s81
	v_rcp_iflag_f32_e32 v5, v5
	s_abs_i32 s82, s71
	v_cvt_f32_u32_e32 v3, s82
	v_cmp_neq_f64_e64 s[0:1], s[28:29], 1.0
	v_mul_f32_e32 v5, 0x4f7ffffe, v5
	v_cvt_u32_f32_e32 v8, v5
	v_cvt_f32_u32_e32 v5, s84
	v_rcp_iflag_f32_e32 v1, v1
	s_abs_i32 s85, s72
	v_rcp_iflag_f32_e32 v3, v3
	v_rcp_iflag_f32_e32 v5, v5
	v_mul_f32_e32 v1, 0x4f7ffffe, v1
	v_cvt_u32_f32_e32 v1, v1
	v_mul_f32_e32 v3, 0x4f7ffffe, v3
	v_mul_f32_e32 v5, 0x4f7ffffe, v5
	v_cvt_u32_f32_e32 v10, v5
	v_cvt_f32_u32_e32 v5, s85
	v_cvt_u32_f32_e32 v3, v3
	s_or_b64 s[44:45], s[0:1], s[44:45]
	s_sub_i32 s1, 0, s81
	v_rcp_iflag_f32_e32 v5, v5
	v_mul_lo_u32 v2, s1, v1
	s_sub_i32 s1, 0, s82
	v_mul_lo_u32 v4, s1, v3
	v_mul_f32_e32 v5, 0x4f7ffffe, v5
	v_cvt_u32_f32_e32 v12, v5
	s_sub_i32 s1, 0, s83
	v_mul_lo_u32 v9, s1, v8
	s_sub_i32 s1, 0, s84
	v_mul_lo_u32 v11, s1, v10
	;; [unrolled: 2-line block ×3, first 2 shown]
	v_mul_hi_u32 v2, v1, v2
	v_mul_hi_u32 v4, v3, v4
	s_load_dword s0, s[4:5], 0x11c
	s_lshl_b64 s[56:57], s[2:3], 1
	v_add_u32_e32 v5, v1, v2
	v_add_u32_e32 v7, v3, v4
	v_mul_hi_u32 v1, v8, v9
	v_mul_hi_u32 v2, v10, v11
	;; [unrolled: 1-line block ×3, first 2 shown]
	s_waitcnt lgkmcnt(0)
	s_and_b32 s86, s0, 0xffff
	s_ashr_i32 s87, s73, 31
	v_add_u32_e32 v8, v8, v1
	v_add_u32_e32 v9, v10, v2
	s_ashr_i32 s88, s72, 31
	v_add_u32_e32 v10, v12, v3
	s_ashr_i32 s89, s33, 31
	s_sub_i32 s69, 0, s69
	s_mov_b64 s[4:5], 0
	s_lshl_b64 s[58:59], s[64:65], 1
	s_lshl_b64 s[62:63], s[62:63], 1
	;; [unrolled: 1-line block ×3, first 2 shown]
	s_branch .LBB85_3
.LBB85_2:                               ;   in Loop: Header=BB85_3 Depth=1
	v_add_u32_e32 v0, s86, v0
	v_cmp_le_i32_e32 vcc, s76, v0
	s_or_b64 s[4:5], vcc, s[4:5]
	s_andn2_b64 exec, exec, s[4:5]
	s_cbranch_execz .LBB85_23
.LBB85_3:                               ; =>This Loop Header: Depth=1
                                        ;     Child Loop BB85_8 Depth 2
                                        ;       Child Loop BB85_11 Depth 3
                                        ;         Child Loop BB85_14 Depth 4
                                        ;           Child Loop BB85_17 Depth 5
	v_sub_u32_e32 v1, 0, v0
	v_max_i32_e32 v4, v0, v1
	v_mul_hi_u32 v1, v4, v5
	v_ashrrev_i32_e32 v11, 31, v0
	v_xor_b32_e32 v3, s89, v11
	s_mov_b64 s[64:65], -1
	v_mul_lo_u32 v2, v1, s81
	v_add_u32_e32 v12, 1, v1
	v_sub_u32_e32 v2, v4, v2
	v_cmp_le_u32_e32 vcc, s81, v2
	v_cndmask_b32_e32 v1, v1, v12, vcc
	v_subrev_u32_e32 v12, s81, v2
	v_cndmask_b32_e32 v2, v2, v12, vcc
	v_add_u32_e32 v12, 1, v1
	v_cmp_le_u32_e32 vcc, s81, v2
	v_cndmask_b32_e32 v1, v1, v12, vcc
	v_xor_b32_e32 v1, v1, v3
	v_sub_u32_e32 v1, v1, v3
	v_mul_hi_u32 v3, v4, v8
	v_sub_u32_e32 v2, 0, v1
	v_max_i32_e32 v12, v1, v2
	v_mul_hi_u32 v2, v12, v7
	v_mul_lo_u32 v13, v3, s83
	v_add_u32_e32 v15, 1, v3
	v_mul_lo_u32 v14, v2, s82
	v_sub_u32_e32 v13, v4, v13
	v_cmp_le_u32_e32 vcc, s83, v13
	v_cndmask_b32_e32 v3, v3, v15, vcc
	v_subrev_u32_e32 v15, s83, v13
	v_cndmask_b32_e32 v13, v13, v15, vcc
	v_add_u32_e32 v15, 1, v3
	v_cmp_le_u32_e32 vcc, s83, v13
	v_xor_b32_e32 v2, s87, v11
	v_cndmask_b32_e32 v3, v3, v15, vcc
	v_xor_b32_e32 v3, v3, v2
	v_sub_u32_e32 v2, v3, v2
	v_sub_u32_e32 v3, 0, v2
	v_max_i32_e32 v13, v2, v3
	v_mul_hi_u32 v3, v13, v9
	v_sub_u32_e32 v12, v12, v14
	v_subrev_u32_e32 v14, s82, v12
	v_cmp_le_u32_e32 vcc, s82, v12
	v_mul_lo_u32 v15, v3, s84
	v_cndmask_b32_e32 v3, v12, v14, vcc
	v_mul_hi_u32 v12, v4, v10
	v_xor_b32_e32 v11, s88, v11
	v_sub_u32_e32 v13, v13, v15
	v_subrev_u32_e32 v14, s84, v13
	v_mul_lo_u32 v15, v12, s85
	v_cmp_le_u32_e32 vcc, s84, v13
	v_cndmask_b32_e32 v13, v13, v14, vcc
	v_add_u32_e32 v14, 1, v12
	v_sub_u32_e32 v4, v4, v15
	v_cmp_le_u32_e32 vcc, s85, v4
	v_cndmask_b32_e32 v12, v12, v14, vcc
	v_subrev_u32_e32 v14, s85, v4
	v_cndmask_b32_e32 v4, v4, v14, vcc
	v_add_u32_e32 v14, 1, v12
	v_cmp_le_u32_e32 vcc, s85, v4
	v_cndmask_b32_e32 v4, v12, v14, vcc
	v_xor_b32_e32 v4, v4, v11
	v_cmp_le_u32_e64 s[0:1], s82, v3
	v_cmp_le_u32_e64 s[2:3], s84, v13
	v_sub_u32_e32 v11, v4, v11
	s_andn2_b64 vcc, exec, s[12:13]
                                        ; implicit-def: $vgpr12
	s_cbranch_vccnz .LBB85_5
; %bb.4:                                ;   in Loop: Header=BB85_3 Depth=1
	v_ashrrev_i32_e32 v12, 31, v11
	s_mov_b64 s[64:65], 0
.LBB85_5:                               ;   in Loop: Header=BB85_3 Depth=1
	v_subrev_u32_e32 v14, s82, v3
	v_mul_lo_u32 v4, v1, s33
	v_ashrrev_i32_e32 v1, 31, v1
	v_cndmask_b32_e64 v3, v3, v14, s[0:1]
	v_xor_b32_e32 v3, v3, v1
	v_sub_u32_e32 v3, v3, v1
	v_subrev_u32_e32 v1, s84, v13
	v_ashrrev_i32_e32 v14, 31, v2
	v_cndmask_b32_e64 v1, v13, v1, s[2:3]
	v_xor_b32_e32 v13, v1, v14
	v_mov_b32_e32 v1, 0
	v_sub_u32_e32 v4, v0, v4
	v_mov_b32_e32 v2, 0
	s_andn2_b64 vcc, exec, s[64:65]
	v_sub_u32_e32 v13, v13, v14
	s_cbranch_vccnz .LBB85_19
; %bb.6:                                ;   in Loop: Header=BB85_3 Depth=1
	v_ashrrev_i32_e32 v12, 31, v11
	v_mul_lo_u32 v16, s43, v11
	v_mul_lo_u32 v17, s42, v12
	v_mad_u64_u32 v[1:2], s[0:1], s42, v11, 0
	v_mul_lo_u32 v18, v4, s22
	v_mul_lo_u32 v14, v13, s20
	v_add3_u32 v2, v2, v17, v16
	v_lshlrev_b64 v[1:2], 1, v[1:2]
	v_mul_lo_u32 v15, v3, s21
	v_mov_b32_e32 v17, s78
	v_add_co_u32_e32 v16, vcc, s77, v1
	v_addc_co_u32_e32 v17, vcc, v17, v2, vcc
	v_mov_b32_e32 v1, 0
	v_add_u32_e32 v18, s69, v18
	s_mov_b32 s91, 0
	v_mov_b32_e32 v2, 0
	s_mov_b64 s[2:3], s[6:7]
	s_branch .LBB85_8
.LBB85_7:                               ;   in Loop: Header=BB85_8 Depth=2
	s_add_i32 s91, s91, 1
	s_add_u32 s2, s2, s56
	s_addc_u32 s3, s3, s57
	s_cmp_eq_u32 s91, s11
	s_cbranch_scc1 .LBB85_19
.LBB85_8:                               ;   Parent Loop BB85_3 Depth=1
                                        ; =>  This Loop Header: Depth=2
                                        ;       Child Loop BB85_11 Depth 3
                                        ;         Child Loop BB85_14 Depth 4
                                        ;           Child Loop BB85_17 Depth 5
	s_andn2_b64 vcc, exec, s[24:25]
	s_cbranch_vccnz .LBB85_7
; %bb.9:                                ;   in Loop: Header=BB85_8 Depth=2
	s_mul_i32 s0, s47, s91
	s_mul_hi_u32 s1, s46, s91
	s_add_i32 s1, s1, s0
	s_mul_i32 s0, s46, s91
	s_lshl_b64 s[0:1], s[0:1], 1
	v_mov_b32_e32 v20, s1
	v_add_co_u32_e32 v19, vcc, s0, v16
	v_addc_co_u32_e32 v20, vcc, v17, v20, vcc
	s_mov_b32 s92, 0
	s_mov_b64 s[64:65], s[2:3]
	s_branch .LBB85_11
.LBB85_10:                              ;   in Loop: Header=BB85_11 Depth=3
	s_add_i32 s92, s92, 1
	s_add_u32 s64, s64, s58
	s_addc_u32 s65, s65, s59
	s_cmp_eq_u32 s92, s14
	s_cbranch_scc1 .LBB85_7
.LBB85_11:                              ;   Parent Loop BB85_3 Depth=1
                                        ;     Parent Loop BB85_8 Depth=2
                                        ; =>    This Loop Header: Depth=3
                                        ;         Child Loop BB85_14 Depth 4
                                        ;           Child Loop BB85_17 Depth 5
	s_andn2_b64 vcc, exec, s[26:27]
	s_cbranch_vccnz .LBB85_10
; %bb.12:                               ;   in Loop: Header=BB85_11 Depth=3
	s_mul_i32 s0, s92, s17
	s_sub_i32 s0, s0, s23
	v_add_u32_e32 v24, s0, v14
	v_mad_u64_u32 v[21:22], s[0:1], s40, v24, 0
	v_cmp_gt_i32_e32 vcc, 0, v24
	s_mov_b32 s93, 0
	v_mad_u64_u32 v[22:23], s[0:1], s41, v24, v[22:23]
	v_cmp_le_i32_e64 s[0:1], s8, v24
	s_or_b64 s[66:67], vcc, s[0:1]
	v_lshlrev_b64 v[21:22], 1, v[21:22]
	s_mov_b64 s[70:71], s[64:65]
	v_add_co_u32_e32 v21, vcc, v19, v21
	v_addc_co_u32_e32 v22, vcc, v20, v22, vcc
	s_branch .LBB85_14
.LBB85_13:                              ;   in Loop: Header=BB85_14 Depth=4
	s_add_i32 s93, s93, 1
	s_add_u32 s70, s70, s62
	s_addc_u32 s71, s71, s63
	s_cmp_eq_u32 s93, s15
	s_cbranch_scc1 .LBB85_10
.LBB85_14:                              ;   Parent Loop BB85_3 Depth=1
                                        ;     Parent Loop BB85_8 Depth=2
                                        ;       Parent Loop BB85_11 Depth=3
                                        ; =>      This Loop Header: Depth=4
                                        ;           Child Loop BB85_17 Depth 5
	s_andn2_b64 vcc, exec, s[34:35]
	s_cbranch_vccnz .LBB85_13
; %bb.15:                               ;   in Loop: Header=BB85_14 Depth=4
	s_mul_i32 s0, s93, s18
	s_sub_i32 s0, s0, s68
	v_add_u32_e32 v26, s0, v15
	v_mad_u64_u32 v[23:24], s[0:1], s38, v26, 0
	v_cmp_gt_i32_e32 vcc, 0, v26
	s_mov_b64 s[74:75], s[70:71]
	v_mad_u64_u32 v[24:25], s[0:1], s39, v26, v[24:25]
	v_cmp_le_i32_e64 s[0:1], s9, v26
	s_or_b64 s[0:1], vcc, s[0:1]
	v_lshlrev_b64 v[23:24], 1, v[23:24]
	s_or_b64 s[72:73], s[66:67], s[0:1]
	v_add_co_u32_e32 v23, vcc, v21, v23
	v_addc_co_u32_e32 v24, vcc, v22, v24, vcc
	v_mov_b32_e32 v25, v18
	s_mov_b32 s94, s16
	s_branch .LBB85_17
.LBB85_16:                              ;   in Loop: Header=BB85_17 Depth=5
	s_or_b64 exec, exec, s[0:1]
	s_add_i32 s94, s94, -1
	s_add_u32 s74, s74, s60
	s_addc_u32 s75, s75, s61
	s_cmp_eq_u32 s94, 0
	v_add_u32_e32 v25, s19, v25
	s_cbranch_scc1 .LBB85_13
.LBB85_17:                              ;   Parent Loop BB85_3 Depth=1
                                        ;     Parent Loop BB85_8 Depth=2
                                        ;       Parent Loop BB85_11 Depth=3
                                        ;         Parent Loop BB85_14 Depth=4
                                        ; =>        This Inner Loop Header: Depth=5
	v_cmp_gt_i32_e32 vcc, 0, v25
	v_cmp_le_i32_e64 s[0:1], s10, v25
	s_or_b64 s[0:1], vcc, s[0:1]
	s_nor_b64 vcc, s[72:73], s[0:1]
	s_and_saveexec_b64 s[0:1], vcc
	s_cbranch_execz .LBB85_16
; %bb.18:                               ;   in Loop: Header=BB85_17 Depth=5
	v_mad_u64_u32 v[26:27], vcc, s36, v25, 0
	v_mad_u64_u32 v[27:28], vcc, s37, v25, v[27:28]
	global_load_ushort v28, v6, s[74:75]
	v_lshlrev_b64 v[26:27], 1, v[26:27]
	v_add_co_u32_e32 v26, vcc, v23, v26
	v_addc_co_u32_e32 v27, vcc, v24, v27, vcc
	global_load_ushort v26, v[26:27], off
	s_waitcnt vmcnt(1)
	v_lshlrev_b32_e32 v28, 16, v28
	v_cvt_f64_f32_e32 v[28:29], v28
	s_waitcnt vmcnt(0)
	v_lshlrev_b32_e32 v26, 16, v26
	v_cvt_f64_f32_e32 v[26:27], v26
	v_fma_f64 v[1:2], v[26:27], v[28:29], v[1:2]
	s_branch .LBB85_16
.LBB85_19:                              ;   in Loop: Header=BB85_3 Depth=1
	v_ashrrev_i32_e32 v14, 31, v4
	v_mul_lo_u32 v16, s49, v4
	v_mul_lo_u32 v17, s48, v14
	v_mad_u64_u32 v[14:15], s[0:1], s48, v4, 0
	v_ashrrev_i32_e32 v4, 31, v3
	v_mul_lo_u32 v4, s50, v4
	v_add3_u32 v15, v15, v17, v16
	v_mad_u64_u32 v[14:15], s[0:1], s50, v3, v[14:15]
	v_mul_lo_u32 v3, s51, v3
	v_ashrrev_i32_e32 v16, 31, v13
	v_mul_lo_u32 v12, v12, s54
	s_and_b64 vcc, exec, s[44:45]
	v_add3_u32 v15, v3, v15, v4
	v_mad_u64_u32 v[3:4], s[0:1], s52, v13, v[14:15]
	v_mul_lo_u32 v13, s53, v13
	v_mul_lo_u32 v14, s52, v16
	v_add3_u32 v4, v13, v4, v14
	v_mad_u64_u32 v[3:4], s[0:1], v11, s54, v[3:4]
	v_mul_lo_u32 v11, v11, s55
	s_mov_b64 s[0:1], -1
	v_add3_u32 v4, v12, v4, v11
	s_cbranch_vccz .LBB85_21
; %bb.20:                               ;   in Loop: Header=BB85_3 Depth=1
	v_lshlrev_b64 v[11:12], 1, v[3:4]
	v_mov_b32_e32 v13, s80
	v_add_co_u32_e32 v11, vcc, s79, v11
	v_addc_co_u32_e32 v12, vcc, v13, v12, vcc
	global_load_ushort v13, v[11:12], off
	s_waitcnt vmcnt(0)
	v_lshlrev_b32_e32 v13, 16, v13
	v_cvt_f64_f32_e32 v[13:14], v13
	v_mul_f64 v[13:14], s[30:31], v[13:14]
	v_fma_f64 v[13:14], s[28:29], v[1:2], v[13:14]
	v_cvt_f32_f64_e32 v13, v[13:14]
	v_and_b32_e32 v14, 0x7f800000, v13
	v_cmp_ne_u32_sdwa s[0:1], v13, v6 src0_sel:WORD_0 src1_sel:DWORD
	v_cmp_eq_u32_e32 vcc, s90, v14
	s_and_b64 s[0:1], vcc, s[0:1]
	v_cndmask_b32_e64 v14, 0, 1, s[0:1]
	v_or_b32_sdwa v13, v13, v14 dst_sel:DWORD dst_unused:UNUSED_PAD src0_sel:WORD_1 src1_sel:DWORD
	global_store_short v[11:12], v13, off
	s_mov_b64 s[0:1], 0
.LBB85_21:                              ;   in Loop: Header=BB85_3 Depth=1
	s_andn2_b64 vcc, exec, s[0:1]
	s_cbranch_vccnz .LBB85_2
; %bb.22:                               ;   in Loop: Header=BB85_3 Depth=1
	v_cvt_f32_f64_e32 v11, v[1:2]
	v_lshlrev_b64 v[1:2], 1, v[3:4]
	v_mov_b32_e32 v4, s80
	v_and_b32_e32 v3, 0x7f800000, v11
	v_cmp_ne_u32_sdwa s[0:1], v11, v6 src0_sel:WORD_0 src1_sel:DWORD
	v_cmp_eq_u32_e32 vcc, s90, v3
	s_and_b64 s[0:1], vcc, s[0:1]
	v_cndmask_b32_e64 v3, 0, 1, s[0:1]
	v_add_co_u32_e32 v1, vcc, s79, v1
	v_or_b32_sdwa v3, v11, v3 dst_sel:DWORD dst_unused:UNUSED_PAD src0_sel:WORD_1 src1_sel:DWORD
	v_addc_co_u32_e32 v2, vcc, v4, v2, vcc
	global_store_short v[1:2], v3, off
	s_branch .LBB85_2
.LBB85_23:
	s_endpgm
	.section	.rodata,"a",@progbits
	.p2align	6, 0x0
	.amdhsa_kernel naive_conv_ab_nonpacked_wrw_ncdhw_ushort_double_ushort
		.amdhsa_group_segment_fixed_size 0
		.amdhsa_private_segment_fixed_size 0
		.amdhsa_kernarg_size 528
		.amdhsa_user_sgpr_count 6
		.amdhsa_user_sgpr_private_segment_buffer 1
		.amdhsa_user_sgpr_dispatch_ptr 0
		.amdhsa_user_sgpr_queue_ptr 0
		.amdhsa_user_sgpr_kernarg_segment_ptr 1
		.amdhsa_user_sgpr_dispatch_id 0
		.amdhsa_user_sgpr_flat_scratch_init 0
		.amdhsa_user_sgpr_private_segment_size 0
		.amdhsa_uses_dynamic_stack 0
		.amdhsa_system_sgpr_private_segment_wavefront_offset 0
		.amdhsa_system_sgpr_workgroup_id_x 1
		.amdhsa_system_sgpr_workgroup_id_y 0
		.amdhsa_system_sgpr_workgroup_id_z 0
		.amdhsa_system_sgpr_workgroup_info 0
		.amdhsa_system_vgpr_workitem_id 0
		.amdhsa_next_free_vgpr 30
		.amdhsa_next_free_sgpr 95
		.amdhsa_reserve_vcc 1
		.amdhsa_reserve_flat_scratch 0
		.amdhsa_float_round_mode_32 0
		.amdhsa_float_round_mode_16_64 0
		.amdhsa_float_denorm_mode_32 3
		.amdhsa_float_denorm_mode_16_64 3
		.amdhsa_dx10_clamp 1
		.amdhsa_ieee_mode 1
		.amdhsa_fp16_overflow 0
		.amdhsa_exception_fp_ieee_invalid_op 0
		.amdhsa_exception_fp_denorm_src 0
		.amdhsa_exception_fp_ieee_div_zero 0
		.amdhsa_exception_fp_ieee_overflow 0
		.amdhsa_exception_fp_ieee_underflow 0
		.amdhsa_exception_fp_ieee_inexact 0
		.amdhsa_exception_int_div_zero 0
	.end_amdhsa_kernel
	.text
.Lfunc_end85:
	.size	naive_conv_ab_nonpacked_wrw_ncdhw_ushort_double_ushort, .Lfunc_end85-naive_conv_ab_nonpacked_wrw_ncdhw_ushort_double_ushort
                                        ; -- End function
	.set naive_conv_ab_nonpacked_wrw_ncdhw_ushort_double_ushort.num_vgpr, 30
	.set naive_conv_ab_nonpacked_wrw_ncdhw_ushort_double_ushort.num_agpr, 0
	.set naive_conv_ab_nonpacked_wrw_ncdhw_ushort_double_ushort.numbered_sgpr, 95
	.set naive_conv_ab_nonpacked_wrw_ncdhw_ushort_double_ushort.num_named_barrier, 0
	.set naive_conv_ab_nonpacked_wrw_ncdhw_ushort_double_ushort.private_seg_size, 0
	.set naive_conv_ab_nonpacked_wrw_ncdhw_ushort_double_ushort.uses_vcc, 1
	.set naive_conv_ab_nonpacked_wrw_ncdhw_ushort_double_ushort.uses_flat_scratch, 0
	.set naive_conv_ab_nonpacked_wrw_ncdhw_ushort_double_ushort.has_dyn_sized_stack, 0
	.set naive_conv_ab_nonpacked_wrw_ncdhw_ushort_double_ushort.has_recursion, 0
	.set naive_conv_ab_nonpacked_wrw_ncdhw_ushort_double_ushort.has_indirect_call, 0
	.section	.AMDGPU.csdata,"",@progbits
; Kernel info:
; codeLenInByte = 2072
; TotalNumSgprs: 99
; NumVgprs: 30
; ScratchSize: 0
; MemoryBound: 0
; FloatMode: 240
; IeeeMode: 1
; LDSByteSize: 0 bytes/workgroup (compile time only)
; SGPRBlocks: 12
; VGPRBlocks: 7
; NumSGPRsForWavesPerEU: 99
; NumVGPRsForWavesPerEU: 30
; Occupancy: 8
; WaveLimiterHint : 0
; COMPUTE_PGM_RSRC2:SCRATCH_EN: 0
; COMPUTE_PGM_RSRC2:USER_SGPR: 6
; COMPUTE_PGM_RSRC2:TRAP_HANDLER: 0
; COMPUTE_PGM_RSRC2:TGID_X_EN: 1
; COMPUTE_PGM_RSRC2:TGID_Y_EN: 0
; COMPUTE_PGM_RSRC2:TGID_Z_EN: 0
; COMPUTE_PGM_RSRC2:TIDIG_COMP_CNT: 0
	.text
	.protected	naive_conv_ab_packed_wrw_ndhwc_float_double_float ; -- Begin function naive_conv_ab_packed_wrw_ndhwc_float_double_float
	.globl	naive_conv_ab_packed_wrw_ndhwc_float_double_float
	.p2align	8
	.type	naive_conv_ab_packed_wrw_ndhwc_float_double_float,@function
naive_conv_ab_packed_wrw_ndhwc_float_double_float: ; @naive_conv_ab_packed_wrw_ndhwc_float_double_float
; %bb.0:
	s_load_dwordx16 s[8:23], s[4:5], 0xb8
	s_load_dwordx2 s[0:1], s[4:5], 0x108
	s_load_dwordx4 s[36:39], s[4:5], 0xf8
	s_waitcnt lgkmcnt(0)
	s_abs_i32 s34, s12
	v_cvt_f32_u32_e32 v1, s34
	s_mul_i32 s46, s0, s13
	s_mul_i32 s7, s46, s39
	;; [unrolled: 1-line block ×3, first 2 shown]
	v_rcp_iflag_f32_e32 v1, v1
	v_cmp_gt_i32_e32 vcc, s33, v0
	v_mul_f32_e32 v1, 0x4f7ffffe, v1
	v_cvt_u32_f32_e32 v1, v1
	v_readfirstlane_b32 s35, v1
	s_and_saveexec_b64 s[2:3], vcc
	s_cbranch_execz .LBB86_21
; %bb.1:
	s_sub_i32 s43, 0, s34
	s_mul_i32 s43, s43, s35
	s_mul_hi_u32 s43, s35, s43
	s_abs_i32 s42, s6
	s_add_i32 s35, s35, s43
	s_ashr_i32 s40, s6, 31
	s_ashr_i32 s41, s12, 31
	s_mul_hi_u32 s35, s42, s35
	s_xor_b32 s40, s40, s41
	s_mul_i32 s41, s35, s34
	s_sub_i32 s41, s42, s41
	s_add_i32 s42, s35, 1
	s_sub_i32 s43, s41, s34
	s_cmp_ge_u32 s41, s34
	s_cselect_b32 s35, s42, s35
	s_cselect_b32 s41, s43, s41
	s_add_i32 s42, s35, 1
	s_cmp_ge_u32 s41, s34
	s_cselect_b32 s34, s42, s35
	s_load_dwordx8 s[24:31], s[4:5], 0x0
	s_load_dwordx2 s[2:3], s[4:5], 0x20
	s_xor_b32 s34, s34, s40
	s_sub_i32 s35, s34, s40
	s_mul_i32 s34, s35, s12
	s_mul_hi_i32 s43, s35, s13
	s_mul_i32 s42, s35, s13
	s_sub_i32 s40, s6, s34
	s_ashr_i32 s58, s13, 31
	s_lshl_b64 s[42:43], s[42:43], 2
	s_waitcnt lgkmcnt(0)
	s_add_u32 s59, s24, s42
	s_addc_u32 s60, s25, s43
	s_ashr_i32 s6, s39, 31
	s_ashr_i32 s61, s0, 31
	;; [unrolled: 1-line block ×3, first 2 shown]
	s_mul_hi_i32 s42, s38, s13
	s_mul_i32 s38, s38, s13
	s_mul_hi_i32 s35, s35, s12
	s_add_u32 s24, s34, s40
	s_mul_i32 s6, s38, s6
	s_mul_hi_u32 s43, s38, s39
	s_addc_u32 s25, s35, s41
	s_add_i32 s6, s43, s6
	s_mul_i32 s42, s42, s39
	s_mul_i32 s38, s38, s39
	s_add_i32 s6, s6, s42
	s_mul_i32 s42, s38, s61
	s_mul_hi_u32 s43, s38, s0
	s_add_i32 s42, s43, s42
	s_mul_i32 s6, s6, s0
	s_mul_i32 s38, s38, s0
	s_add_i32 s6, s42, s6
	s_mul_i32 s25, s38, s25
	s_mul_hi_u32 s42, s38, s24
	s_add_i32 s25, s42, s25
	s_mul_i32 s6, s6, s24
	s_add_i32 s25, s25, s6
	s_mul_i32 s24, s38, s24
	s_lshl_b64 s[24:25], s[24:25], 2
	s_add_u32 s63, s26, s24
	s_addc_u32 s64, s27, s25
	s_lshl_b64 s[24:25], s[34:35], 2
	s_load_dword s6, s[4:5], 0x11c
	s_add_u32 s4, s2, s24
	s_addc_u32 s5, s3, s25
	s_lshl_b64 s[2:3], s[40:41], 2
	s_add_u32 s24, s4, s2
	s_addc_u32 s25, s5, s3
	s_cmp_lt_i32 s11, 1
	s_cselect_b64 s[26:27], -1, 0
	s_cmp_gt_i32 s14, 0
	s_cselect_b64 s[34:35], -1, 0
	s_cmp_gt_i32 s15, 0
	;; [unrolled: 2-line block ×3, first 2 shown]
	s_cselect_b64 s[42:43], -1, 0
	s_abs_i32 s66, s13
	v_cvt_f32_u32_e32 v1, s66
	s_abs_i32 s67, s0
	v_cvt_f32_u32_e32 v2, s67
	s_sub_i32 s38, 0, s66
	v_rcp_iflag_f32_e32 v1, v1
	s_abs_i32 s68, s46
	v_rcp_iflag_f32_e32 v2, v2
	v_cvt_f32_u32_e32 v5, s68
	v_mul_f32_e32 v1, 0x4f7ffffe, v1
	v_cvt_u32_f32_e32 v1, v1
	v_mul_f32_e32 v2, 0x4f7ffffe, v2
	v_cvt_u32_f32_e32 v2, v2
	s_abs_i32 s70, s39
	v_mul_lo_u32 v3, s38, v1
	s_sub_i32 s38, 0, s67
	v_mul_lo_u32 v4, s38, v2
	s_abs_i32 s71, s7
	v_mul_hi_u32 v3, v1, v3
	s_mov_b32 s62, s0
	v_mul_hi_u32 v4, v2, v4
	s_mul_i32 s65, s1, s13
	v_add_u32_e32 v11, v1, v3
	v_cvt_f32_u32_e32 v3, s71
	v_add_u32_e32 v12, v2, v4
	v_cvt_f32_u32_e32 v2, s70
	s_mul_i32 s2, s1, s12
	v_cmp_neq_f64_e64 s[0:1], s[28:29], 1.0
	v_cmp_neq_f64_e64 s[4:5], s[30:31], 0
	v_rcp_iflag_f32_e32 v5, v5
	v_rcp_iflag_f32_e32 v2, v2
	v_rcp_iflag_f32_e32 v3, v3
	s_ashr_i32 s3, s2, 31
	v_mul_f32_e32 v1, 0x4f7ffffe, v5
	v_cvt_u32_f32_e32 v1, v1
	v_mul_f32_e32 v2, 0x4f7ffffe, v2
	v_cvt_u32_f32_e32 v2, v2
	;; [unrolled: 2-line block ×3, first 2 shown]
	s_or_b64 s[44:45], s[0:1], s[4:5]
	s_sub_i32 s0, 0, s68
	v_mul_lo_u32 v4, s0, v1
	s_sub_i32 s0, 0, s70
	v_mul_lo_u32 v5, s0, v2
	;; [unrolled: 2-line block ×3, first 2 shown]
	s_mul_i32 s0, s16, s15
	s_mul_hi_u32 s1, s0, s2
	s_mul_i32 s4, s0, s3
	s_add_i32 s1, s1, s4
	s_mul_hi_i32 s4, s16, s15
	s_ashr_i32 s12, s14, 31
	v_mul_hi_u32 v4, v1, v4
	v_mul_hi_u32 v5, v2, v5
	;; [unrolled: 1-line block ×3, first 2 shown]
	s_mul_i32 s4, s4, s2
	s_mul_i32 s0, s0, s2
	s_add_i32 s1, s1, s4
	s_mul_hi_u32 s4, s0, s14
	s_mul_i32 s5, s0, s12
	s_add_i32 s4, s4, s5
	s_mul_i32 s5, s1, s14
	s_add_i32 s5, s4, s5
	s_mul_i32 s4, s0, s14
	s_lshl_b64 s[48:49], s[0:1], 2
	s_mul_hi_i32 s1, s16, s2
	s_mul_i32 s0, s16, s2
	s_waitcnt lgkmcnt(0)
	s_and_b32 s69, s6, 0xffff
	s_ashr_i32 s72, s46, 31
	v_add_u32_e32 v13, v1, v4
	v_add_u32_e32 v14, v2, v5
	s_ashr_i32 s73, s7, 31
	v_add_u32_e32 v15, v3, v6
	s_lshl_b64 s[46:47], s[4:5], 2
	s_lshl_b64 s[50:51], s[0:1], 2
	s_lshl_b64 s[52:53], s[2:3], 2
	s_mov_b32 s74, s13
	s_mov_b32 s75, s39
	s_ashr_i32 s76, s8, 31
	s_mov_b32 s77, s8
	s_ashr_i32 s78, s9, 31
	s_mov_b32 s79, s9
	s_ashr_i32 s80, s10, 31
	s_mov_b32 s81, s10
	s_ashr_i32 s82, s65, 31
	s_sub_i32 s37, 0, s37
	s_mov_b64 s[12:13], 0
	s_branch .LBB86_3
.LBB86_2:                               ;   in Loop: Header=BB86_3 Depth=1
	v_cvt_f32_f64_e32 v3, v[3:4]
	v_add_u32_e32 v0, s69, v0
	v_cmp_le_i32_e32 vcc, s33, v0
	s_or_b64 s[12:13], vcc, s[12:13]
	global_store_dword v[1:2], v3, off
	s_andn2_b64 exec, exec, s[12:13]
	s_cbranch_execz .LBB86_21
.LBB86_3:                               ; =>This Loop Header: Depth=1
                                        ;     Child Loop BB86_8 Depth 2
                                        ;       Child Loop BB86_11 Depth 3
                                        ;         Child Loop BB86_14 Depth 4
                                        ;           Child Loop BB86_17 Depth 5
	v_sub_u32_e32 v1, 0, v0
	v_max_i32_e32 v2, v0, v1
	v_mul_hi_u32 v1, v2, v11
	v_ashrrev_i32_e32 v3, 31, v0
	v_xor_b32_e32 v5, s58, v3
	s_mov_b64 s[38:39], -1
	v_mul_lo_u32 v4, v1, s66
	v_add_u32_e32 v6, 1, v1
	v_sub_u32_e32 v4, v2, v4
	v_cmp_le_u32_e32 vcc, s66, v4
	v_cndmask_b32_e32 v1, v1, v6, vcc
	v_subrev_u32_e32 v6, s66, v4
	v_cndmask_b32_e32 v4, v4, v6, vcc
	v_add_u32_e32 v6, 1, v1
	v_cmp_le_u32_e32 vcc, s66, v4
	v_cndmask_b32_e32 v1, v1, v6, vcc
	v_xor_b32_e32 v1, v1, v5
	v_sub_u32_e32 v4, v1, v5
	v_mul_hi_u32 v5, v2, v13
	v_sub_u32_e32 v1, 0, v4
	v_max_i32_e32 v7, v4, v1
	v_mul_hi_u32 v1, v7, v12
	v_mul_lo_u32 v6, v5, s68
	v_add_u32_e32 v10, 1, v5
	v_mul_lo_u32 v8, v4, s74
	v_mul_lo_u32 v9, v1, s67
	v_sub_u32_e32 v6, v2, v6
	v_cmp_le_u32_e32 vcc, s68, v6
	v_cndmask_b32_e32 v5, v5, v10, vcc
	v_subrev_u32_e32 v10, s68, v6
	v_cndmask_b32_e32 v6, v6, v10, vcc
	v_add_u32_e32 v10, 1, v5
	v_cmp_le_u32_e32 vcc, s68, v6
	v_xor_b32_e32 v1, s72, v3
	v_cndmask_b32_e32 v5, v5, v10, vcc
	v_xor_b32_e32 v5, v5, v1
	v_sub_u32_e32 v6, v5, v1
	v_sub_u32_e32 v1, 0, v6
	v_max_i32_e32 v10, v6, v1
	v_mul_hi_u32 v5, v10, v14
	v_sub_u32_e32 v7, v7, v9
	v_sub_u32_e32 v1, v0, v8
	v_subrev_u32_e32 v8, s67, v7
	v_cmp_le_u32_e32 vcc, s67, v7
	v_mul_lo_u32 v9, v5, s70
	v_cndmask_b32_e32 v5, v7, v8, vcc
	v_mul_hi_u32 v7, v2, v15
	v_cmp_le_u32_e64 s[0:1], s67, v5
	v_sub_u32_e32 v8, v10, v9
	v_subrev_u32_e32 v9, s70, v8
	v_mul_lo_u32 v10, v7, s71
	v_cmp_le_u32_e32 vcc, s70, v8
	v_cndmask_b32_e32 v8, v8, v9, vcc
	v_cmp_le_u32_e64 s[6:7], s70, v8
	v_sub_u32_e32 v2, v2, v10
	v_subrev_u32_e32 v9, s71, v2
	v_cmp_le_u32_e64 s[2:3], s71, v2
	v_cndmask_b32_e64 v2, v2, v9, s[2:3]
	v_cmp_le_u32_e64 s[4:5], s71, v2
	s_andn2_b64 vcc, exec, s[26:27]
	s_cbranch_vccnz .LBB86_5
; %bb.4:                                ;   in Loop: Header=BB86_3 Depth=1
	v_ashrrev_i32_e32 v2, 31, v1
	s_mov_b64 s[38:39], 0
.LBB86_5:                               ;   in Loop: Header=BB86_3 Depth=1
	v_subrev_u32_e32 v9, s67, v5
	v_ashrrev_i32_e32 v4, 31, v4
	v_cndmask_b32_e64 v5, v5, v9, s[0:1]
	v_xor_b32_e32 v5, v5, v4
	v_sub_u32_e32 v5, v5, v4
	v_ashrrev_i32_e32 v4, 31, v6
	v_subrev_u32_e32 v6, s70, v8
	v_cndmask_b32_e64 v6, v8, v6, s[6:7]
	v_xor_b32_e32 v8, s73, v3
	v_add_u32_e32 v3, 1, v7
	v_xor_b32_e32 v6, v6, v4
	v_cndmask_b32_e64 v3, v7, v3, s[2:3]
	v_sub_u32_e32 v6, v6, v4
	v_add_u32_e32 v4, 1, v3
	v_cndmask_b32_e64 v3, v3, v4, s[4:5]
	v_xor_b32_e32 v7, v3, v8
	v_mov_b32_e32 v3, 0
	v_mov_b32_e32 v4, 0
	s_andn2_b64 vcc, exec, s[38:39]
	v_sub_u32_e32 v16, v7, v8
	s_cbranch_vccnz .LBB86_19
; %bb.6:                                ;   in Loop: Header=BB86_3 Depth=1
	v_ashrrev_i32_e32 v2, 31, v1
	v_mul_lo_u32 v7, v5, s22
	v_lshlrev_b64 v[3:4], 2, v[1:2]
	v_mul_lo_u32 v17, v16, s20
	v_mul_lo_u32 v18, v6, s21
	v_mov_b32_e32 v8, s60
	v_add_co_u32_e32 v19, vcc, s59, v3
	v_addc_co_u32_e32 v20, vcc, v8, v4, vcc
	v_mov_b32_e32 v3, 0
	v_add_u32_e32 v21, s37, v7
	s_mov_b32 s83, 0
	v_mov_b32_e32 v4, 0
	s_mov_b64 s[2:3], s[24:25]
	s_branch .LBB86_8
.LBB86_7:                               ;   in Loop: Header=BB86_8 Depth=2
	s_add_i32 s83, s83, 1
	s_add_u32 s2, s2, s46
	s_addc_u32 s3, s3, s47
	s_cmp_eq_u32 s83, s11
	s_cbranch_scc1 .LBB86_19
.LBB86_8:                               ;   Parent Loop BB86_3 Depth=1
                                        ; =>  This Loop Header: Depth=2
                                        ;       Child Loop BB86_11 Depth 3
                                        ;         Child Loop BB86_14 Depth 4
                                        ;           Child Loop BB86_17 Depth 5
	s_andn2_b64 vcc, exec, s[34:35]
	s_cbranch_vccnz .LBB86_7
; %bb.9:                                ;   in Loop: Header=BB86_8 Depth=2
	s_mul_i32 s0, s83, s76
	s_mul_hi_u32 s1, s83, s77
	s_add_i32 s84, s1, s0
	s_mul_i32 s85, s83, s77
	s_mov_b32 s86, 0
	s_mov_b64 s[4:5], s[2:3]
	s_branch .LBB86_11
.LBB86_10:                              ;   in Loop: Header=BB86_11 Depth=3
	s_add_i32 s86, s86, 1
	s_add_u32 s4, s4, s48
	s_addc_u32 s5, s5, s49
	s_cmp_eq_u32 s86, s14
	s_cbranch_scc1 .LBB86_7
.LBB86_11:                              ;   Parent Loop BB86_3 Depth=1
                                        ;     Parent Loop BB86_8 Depth=2
                                        ; =>    This Loop Header: Depth=3
                                        ;         Child Loop BB86_14 Depth 4
                                        ;           Child Loop BB86_17 Depth 5
	s_andn2_b64 vcc, exec, s[40:41]
	s_cbranch_vccnz .LBB86_10
; %bb.12:                               ;   in Loop: Header=BB86_11 Depth=3
	s_mul_i32 s0, s86, s17
	s_sub_i32 s0, s0, s23
	v_add_u32_e32 v9, s0, v17
	v_mov_b32_e32 v7, s84
	v_add_co_u32_e32 v8, vcc, s85, v9
	v_addc_co_u32_e32 v7, vcc, 0, v7, vcc
	v_mul_lo_u32 v10, v7, s79
	v_mul_lo_u32 v22, v8, s78
	v_mad_u64_u32 v[7:8], s[0:1], v8, s79, 0
	v_cmp_gt_i32_e32 vcc, 0, v9
	v_cmp_le_i32_e64 s[0:1], s8, v9
	s_mov_b32 s87, 0
	s_or_b64 s[6:7], vcc, s[0:1]
	v_add3_u32 v8, v8, v22, v10
	s_mov_b64 s[38:39], s[4:5]
	s_branch .LBB86_14
.LBB86_13:                              ;   in Loop: Header=BB86_14 Depth=4
	s_add_i32 s87, s87, 1
	s_add_u32 s38, s38, s50
	s_addc_u32 s39, s39, s51
	s_cmp_eq_u32 s87, s15
	s_cbranch_scc1 .LBB86_10
.LBB86_14:                              ;   Parent Loop BB86_3 Depth=1
                                        ;     Parent Loop BB86_8 Depth=2
                                        ;       Parent Loop BB86_11 Depth=3
                                        ; =>      This Loop Header: Depth=4
                                        ;           Child Loop BB86_17 Depth 5
	s_andn2_b64 vcc, exec, s[42:43]
	s_cbranch_vccnz .LBB86_13
; %bb.15:                               ;   in Loop: Header=BB86_14 Depth=4
	s_mul_i32 s0, s87, s18
	s_sub_i32 s0, s0, s36
	v_add_u32_e32 v22, s0, v18
	v_add_co_u32_e64 v9, s[0:1], v7, v22
	v_addc_co_u32_e64 v10, s[0:1], 0, v8, s[0:1]
	v_mul_lo_u32 v23, v10, s81
	v_mul_lo_u32 v24, v9, s80
	v_mad_u64_u32 v[9:10], s[0:1], v9, s81, 0
	v_cmp_gt_i32_e32 vcc, 0, v22
	v_cmp_le_i32_e64 s[0:1], s9, v22
	s_or_b64 s[0:1], vcc, s[0:1]
	s_or_b64 s[54:55], s[6:7], s[0:1]
	v_add3_u32 v10, v10, v24, v23
	v_mov_b32_e32 v22, v21
	s_mov_b64 s[56:57], s[38:39]
	s_mov_b32 s88, s16
	s_branch .LBB86_17
.LBB86_16:                              ;   in Loop: Header=BB86_17 Depth=5
	s_or_b64 exec, exec, s[0:1]
	s_add_i32 s88, s88, -1
	s_add_u32 s56, s56, s52
	s_addc_u32 s57, s57, s53
	s_cmp_eq_u32 s88, 0
	v_add_u32_e32 v22, s19, v22
	s_cbranch_scc1 .LBB86_13
.LBB86_17:                              ;   Parent Loop BB86_3 Depth=1
                                        ;     Parent Loop BB86_8 Depth=2
                                        ;       Parent Loop BB86_11 Depth=3
                                        ;         Parent Loop BB86_14 Depth=4
                                        ; =>        This Inner Loop Header: Depth=5
	v_cmp_gt_i32_e32 vcc, 0, v22
	v_cmp_le_i32_e64 s[0:1], s10, v22
	s_or_b64 s[0:1], vcc, s[0:1]
	s_nor_b64 s[90:91], s[54:55], s[0:1]
	s_and_saveexec_b64 s[0:1], s[90:91]
	s_cbranch_execz .LBB86_16
; %bb.18:                               ;   in Loop: Header=BB86_17 Depth=5
	v_add_co_u32_e32 v23, vcc, v9, v22
	v_addc_co_u32_e32 v24, vcc, 0, v10, vcc
	v_mul_lo_u32 v25, v24, s65
	v_mul_lo_u32 v26, v23, s82
	v_mad_u64_u32 v[23:24], s[90:91], v23, s65, 0
	s_load_dword s89, s[56:57], 0x0
	v_add3_u32 v24, v24, v26, v25
	v_lshlrev_b64 v[23:24], 2, v[23:24]
	v_add_co_u32_e32 v23, vcc, v19, v23
	v_addc_co_u32_e32 v24, vcc, v20, v24, vcc
	global_load_dword v23, v[23:24], off
	s_waitcnt lgkmcnt(0)
	v_cvt_f64_f32_e32 v[25:26], s89
	s_waitcnt vmcnt(0)
	v_cvt_f64_f32_e32 v[23:24], v23
	v_fma_f64 v[3:4], v[23:24], v[25:26], v[3:4]
	s_branch .LBB86_16
.LBB86_19:                              ;   in Loop: Header=BB86_3 Depth=1
	v_ashrrev_i32_e32 v7, 31, v6
	v_mad_i64_i32 v[7:8], s[0:1], v16, s75, v[6:7]
	v_ashrrev_i32_e32 v6, 31, v5
	v_lshlrev_b64 v[1:2], 2, v[1:2]
	v_mad_u64_u32 v[5:6], s[0:1], v7, s62, v[5:6]
	v_mul_lo_u32 v7, v7, s61
	v_mul_lo_u32 v8, v8, s62
	v_mov_b32_e32 v9, s64
	v_add3_u32 v7, v8, v6, v7
	v_mul_lo_u32 v8, v5, s58
	v_mad_u64_u32 v[5:6], s[0:1], v5, s74, 0
	v_mul_lo_u32 v7, v7, s74
	v_add3_u32 v6, v6, v8, v7
	v_lshlrev_b64 v[5:6], 2, v[5:6]
	v_add_co_u32_e32 v5, vcc, s63, v5
	v_addc_co_u32_e32 v6, vcc, v9, v6, vcc
	v_add_co_u32_e64 v1, s[0:1], v5, v1
	s_andn2_b64 vcc, exec, s[44:45]
	v_addc_co_u32_e64 v2, s[0:1], v6, v2, s[0:1]
	s_cbranch_vccnz .LBB86_2
; %bb.20:                               ;   in Loop: Header=BB86_3 Depth=1
	global_load_dword v5, v[1:2], off
	s_waitcnt vmcnt(0)
	v_cvt_f64_f32_e32 v[5:6], v5
	v_mul_f64 v[5:6], s[30:31], v[5:6]
	v_fma_f64 v[3:4], s[28:29], v[3:4], v[5:6]
	s_branch .LBB86_2
.LBB86_21:
	s_endpgm
	.section	.rodata,"a",@progbits
	.p2align	6, 0x0
	.amdhsa_kernel naive_conv_ab_packed_wrw_ndhwc_float_double_float
		.amdhsa_group_segment_fixed_size 0
		.amdhsa_private_segment_fixed_size 0
		.amdhsa_kernarg_size 528
		.amdhsa_user_sgpr_count 6
		.amdhsa_user_sgpr_private_segment_buffer 1
		.amdhsa_user_sgpr_dispatch_ptr 0
		.amdhsa_user_sgpr_queue_ptr 0
		.amdhsa_user_sgpr_kernarg_segment_ptr 1
		.amdhsa_user_sgpr_dispatch_id 0
		.amdhsa_user_sgpr_flat_scratch_init 0
		.amdhsa_user_sgpr_private_segment_size 0
		.amdhsa_uses_dynamic_stack 0
		.amdhsa_system_sgpr_private_segment_wavefront_offset 0
		.amdhsa_system_sgpr_workgroup_id_x 1
		.amdhsa_system_sgpr_workgroup_id_y 0
		.amdhsa_system_sgpr_workgroup_id_z 0
		.amdhsa_system_sgpr_workgroup_info 0
		.amdhsa_system_vgpr_workitem_id 0
		.amdhsa_next_free_vgpr 27
		.amdhsa_next_free_sgpr 92
		.amdhsa_reserve_vcc 1
		.amdhsa_reserve_flat_scratch 0
		.amdhsa_float_round_mode_32 0
		.amdhsa_float_round_mode_16_64 0
		.amdhsa_float_denorm_mode_32 3
		.amdhsa_float_denorm_mode_16_64 3
		.amdhsa_dx10_clamp 1
		.amdhsa_ieee_mode 1
		.amdhsa_fp16_overflow 0
		.amdhsa_exception_fp_ieee_invalid_op 0
		.amdhsa_exception_fp_denorm_src 0
		.amdhsa_exception_fp_ieee_div_zero 0
		.amdhsa_exception_fp_ieee_overflow 0
		.amdhsa_exception_fp_ieee_underflow 0
		.amdhsa_exception_fp_ieee_inexact 0
		.amdhsa_exception_int_div_zero 0
	.end_amdhsa_kernel
	.text
.Lfunc_end86:
	.size	naive_conv_ab_packed_wrw_ndhwc_float_double_float, .Lfunc_end86-naive_conv_ab_packed_wrw_ndhwc_float_double_float
                                        ; -- End function
	.set naive_conv_ab_packed_wrw_ndhwc_float_double_float.num_vgpr, 27
	.set naive_conv_ab_packed_wrw_ndhwc_float_double_float.num_agpr, 0
	.set naive_conv_ab_packed_wrw_ndhwc_float_double_float.numbered_sgpr, 92
	.set naive_conv_ab_packed_wrw_ndhwc_float_double_float.num_named_barrier, 0
	.set naive_conv_ab_packed_wrw_ndhwc_float_double_float.private_seg_size, 0
	.set naive_conv_ab_packed_wrw_ndhwc_float_double_float.uses_vcc, 1
	.set naive_conv_ab_packed_wrw_ndhwc_float_double_float.uses_flat_scratch, 0
	.set naive_conv_ab_packed_wrw_ndhwc_float_double_float.has_dyn_sized_stack, 0
	.set naive_conv_ab_packed_wrw_ndhwc_float_double_float.has_recursion, 0
	.set naive_conv_ab_packed_wrw_ndhwc_float_double_float.has_indirect_call, 0
	.section	.AMDGPU.csdata,"",@progbits
; Kernel info:
; codeLenInByte = 1964
; TotalNumSgprs: 96
; NumVgprs: 27
; ScratchSize: 0
; MemoryBound: 0
; FloatMode: 240
; IeeeMode: 1
; LDSByteSize: 0 bytes/workgroup (compile time only)
; SGPRBlocks: 11
; VGPRBlocks: 6
; NumSGPRsForWavesPerEU: 96
; NumVGPRsForWavesPerEU: 27
; Occupancy: 8
; WaveLimiterHint : 0
; COMPUTE_PGM_RSRC2:SCRATCH_EN: 0
; COMPUTE_PGM_RSRC2:USER_SGPR: 6
; COMPUTE_PGM_RSRC2:TRAP_HANDLER: 0
; COMPUTE_PGM_RSRC2:TGID_X_EN: 1
; COMPUTE_PGM_RSRC2:TGID_Y_EN: 0
; COMPUTE_PGM_RSRC2:TGID_Z_EN: 0
; COMPUTE_PGM_RSRC2:TIDIG_COMP_CNT: 0
	.text
	.protected	naive_conv_ab_nonpacked_wrw_ndhwc_float_double_float ; -- Begin function naive_conv_ab_nonpacked_wrw_ndhwc_float_double_float
	.globl	naive_conv_ab_nonpacked_wrw_ndhwc_float_double_float
	.p2align	8
	.type	naive_conv_ab_nonpacked_wrw_ndhwc_float_double_float,@function
naive_conv_ab_nonpacked_wrw_ndhwc_float_double_float: ; @naive_conv_ab_nonpacked_wrw_ndhwc_float_double_float
; %bb.0:
	s_load_dwordx16 s[8:23], s[4:5], 0xb8
	s_load_dword s73, s[4:5], 0x108
	s_load_dwordx4 s[68:71], s[4:5], 0xf8
	s_waitcnt lgkmcnt(0)
	s_abs_i32 s0, s12
	v_cvt_f32_u32_e32 v1, s0
	s_mul_i32 s72, s73, s13
	s_mul_i32 s7, s72, s71
	;; [unrolled: 1-line block ×3, first 2 shown]
	v_rcp_iflag_f32_e32 v1, v1
	v_cmp_gt_i32_e32 vcc, s33, v0
	v_mul_f32_e32 v1, 0x4f7ffffe, v1
	v_cvt_u32_f32_e32 v1, v1
	v_readfirstlane_b32 s1, v1
	s_and_saveexec_b64 s[2:3], vcc
	s_cbranch_execz .LBB87_21
; %bb.1:
	s_sub_i32 s35, 0, s0
	s_mul_i32 s35, s35, s1
	s_mul_hi_u32 s35, s1, s35
	s_abs_i32 s34, s6
	s_add_i32 s1, s1, s35
	s_ashr_i32 s2, s6, 31
	s_ashr_i32 s3, s12, 31
	s_mul_hi_u32 s1, s34, s1
	s_xor_b32 s2, s2, s3
	s_mul_i32 s3, s1, s0
	s_sub_i32 s3, s34, s3
	s_add_i32 s34, s1, 1
	s_sub_i32 s35, s3, s0
	s_cmp_ge_u32 s3, s0
	s_cselect_b32 s1, s34, s1
	s_cselect_b32 s3, s35, s3
	s_add_i32 s34, s1, 1
	s_load_dwordx16 s[36:51], s[4:5], 0x28
	s_cmp_ge_u32 s3, s0
	s_cselect_b32 s0, s34, s1
	s_xor_b32 s0, s0, s2
	s_sub_i32 s34, s0, s2
	s_load_dwordx8 s[24:31], s[4:5], 0x0
	s_mul_i32 s0, s34, s12
	s_ashr_i32 s35, s34, 31
	s_sub_i32 s6, s6, s0
	s_waitcnt lgkmcnt(0)
	s_mul_i32 s0, s38, s35
	s_mul_hi_u32 s1, s38, s34
	s_load_dwordx16 s[52:67], s[4:5], 0x68
	s_add_i32 s0, s1, s0
	s_mul_i32 s1, s39, s34
	s_add_i32 s1, s0, s1
	s_mul_i32 s0, s38, s34
	s_lshl_b64 s[0:1], s[0:1], 2
	s_add_u32 s12, s24, s0
	s_addc_u32 s78, s25, s1
	s_waitcnt lgkmcnt(0)
	s_mul_i32 s0, s58, s35
	s_mul_hi_u32 s1, s58, s34
	s_ashr_i32 s24, s6, 31
	s_add_i32 s0, s1, s0
	s_mul_i32 s1, s56, s24
	s_mul_hi_u32 s2, s56, s6
	s_add_i32 s2, s2, s1
	s_mul_i32 s1, s59, s34
	s_add_i32 s1, s0, s1
	s_mul_i32 s0, s58, s34
	s_mul_i32 s3, s57, s6
	s_add_i32 s3, s2, s3
	s_lshl_b64 s[0:1], s[0:1], 2
	s_add_u32 s25, s26, s0
	s_mul_i32 s2, s56, s6
	s_addc_u32 s26, s27, s1
	s_lshl_b64 s[0:1], s[2:3], 2
	s_add_u32 s79, s25, s0
	s_load_dwordx2 s[2:3], s[4:5], 0x20
	s_addc_u32 s80, s26, s1
	s_mul_i32 s0, s62, s35
	s_mul_hi_u32 s1, s62, s34
	s_add_i32 s0, s1, s0
	s_mul_i32 s1, s63, s34
	s_mul_i32 s24, s60, s24
	s_mul_hi_u32 s25, s60, s6
	s_add_i32 s1, s0, s1
	s_mul_i32 s0, s62, s34
	s_add_i32 s24, s25, s24
	s_mul_i32 s25, s61, s6
	s_add_i32 s25, s24, s25
	s_lshl_b64 s[0:1], s[0:1], 2
	s_waitcnt lgkmcnt(0)
	s_add_u32 s2, s2, s0
	s_mul_i32 s24, s60, s6
	s_addc_u32 s3, s3, s1
	s_lshl_b64 s[0:1], s[24:25], 2
	s_add_u32 s24, s2, s0
	s_addc_u32 s25, s3, s1
	s_cmp_lt_i32 s11, 1
	s_cselect_b64 s[26:27], -1, 0
	s_cmp_gt_i32 s14, 0
	s_cselect_b64 s[34:35], -1, 0
	s_cmp_gt_i32 s15, 0
	;; [unrolled: 2-line block ×3, first 2 shown]
	s_cselect_b64 s[56:57], -1, 0
	s_abs_i32 s83, s72
	v_cvt_f32_u32_e32 v5, s83
	s_abs_i32 s84, s71
	v_cmp_neq_f64_e64 s[0:1], s[28:29], 1.0
	v_cmp_neq_f64_e64 s[2:3], s[30:31], 0
	v_rcp_iflag_f32_e32 v5, v5
	s_abs_i32 s81, s13
	v_cvt_f32_u32_e32 v1, s81
	s_abs_i32 s82, s73
	v_mul_f32_e32 v5, 0x4f7ffffe, v5
	v_cvt_u32_f32_e32 v7, v5
	v_cvt_f32_u32_e32 v5, s84
	v_cvt_f32_u32_e32 v3, s82
	v_rcp_iflag_f32_e32 v1, v1
	s_abs_i32 s85, s7
	v_rcp_iflag_f32_e32 v5, v5
	v_rcp_iflag_f32_e32 v3, v3
	s_or_b64 s[58:59], s[0:1], s[2:3]
	s_load_dwordx4 s[0:3], s[4:5], 0xa8
	v_mul_f32_e32 v5, 0x4f7ffffe, v5
	v_cvt_u32_f32_e32 v9, v5
	v_cvt_f32_u32_e32 v5, s85
	v_mul_f32_e32 v1, 0x4f7ffffe, v1
	v_cvt_u32_f32_e32 v1, v1
	v_mul_f32_e32 v3, 0x4f7ffffe, v3
	v_rcp_iflag_f32_e32 v5, v5
	v_cvt_u32_f32_e32 v3, v3
	s_waitcnt lgkmcnt(0)
	s_lshl_b64 s[62:63], s[0:1], 2
	s_sub_i32 s1, 0, s81
	v_mul_lo_u32 v2, s1, v1
	s_sub_i32 s1, 0, s82
	v_mul_f32_e32 v5, 0x4f7ffffe, v5
	v_mul_lo_u32 v4, s1, v3
	v_cvt_u32_f32_e32 v11, v5
	s_sub_i32 s1, 0, s83
	v_mul_lo_u32 v8, s1, v7
	s_sub_i32 s1, 0, s84
	v_mul_lo_u32 v10, s1, v9
	;; [unrolled: 2-line block ×3, first 2 shown]
	v_mul_hi_u32 v2, v1, v2
	v_mul_hi_u32 v4, v3, v4
	s_load_dword s0, s[4:5], 0x11c
	s_lshl_b64 s[60:61], s[2:3], 2
	v_add_u32_e32 v5, v1, v2
	v_add_u32_e32 v6, v3, v4
	v_mul_hi_u32 v1, v7, v8
	v_mul_hi_u32 v2, v9, v10
	;; [unrolled: 1-line block ×3, first 2 shown]
	s_waitcnt lgkmcnt(0)
	s_and_b32 s86, s0, 0xffff
	s_ashr_i32 s87, s72, 31
	v_add_u32_e32 v7, v7, v1
	v_add_u32_e32 v8, v9, v2
	s_ashr_i32 s88, s7, 31
	v_add_u32_e32 v9, v11, v3
	s_ashr_i32 s89, s13, 31
	s_sub_i32 s69, 0, s69
	s_mov_b64 s[70:71], 0
	s_lshl_b64 s[66:67], s[66:67], 2
	s_lshl_b64 s[64:65], s[64:65], 2
	s_branch .LBB87_3
.LBB87_2:                               ;   in Loop: Header=BB87_3 Depth=1
	v_cvt_f32_f64_e32 v1, v[1:2]
	v_add_u32_e32 v0, s86, v0
	v_cmp_le_i32_e32 vcc, s33, v0
	s_or_b64 s[70:71], vcc, s[70:71]
	global_store_dword v[3:4], v1, off
	s_andn2_b64 exec, exec, s[70:71]
	s_cbranch_execz .LBB87_21
.LBB87_3:                               ; =>This Loop Header: Depth=1
                                        ;     Child Loop BB87_8 Depth 2
                                        ;       Child Loop BB87_11 Depth 3
                                        ;         Child Loop BB87_14 Depth 4
                                        ;           Child Loop BB87_17 Depth 5
	v_sub_u32_e32 v1, 0, v0
	v_max_i32_e32 v4, v0, v1
	v_mul_hi_u32 v2, v4, v5
	v_ashrrev_i32_e32 v1, 31, v0
	v_xor_b32_e32 v10, s89, v1
	s_mov_b64 s[72:73], -1
	v_mul_lo_u32 v3, v2, s81
	v_add_u32_e32 v11, 1, v2
	v_sub_u32_e32 v3, v4, v3
	v_cmp_le_u32_e32 vcc, s81, v3
	v_cndmask_b32_e32 v2, v2, v11, vcc
	v_subrev_u32_e32 v11, s81, v3
	v_cndmask_b32_e32 v3, v3, v11, vcc
	v_add_u32_e32 v11, 1, v2
	v_cmp_le_u32_e32 vcc, s81, v3
	v_cndmask_b32_e32 v2, v2, v11, vcc
	v_xor_b32_e32 v2, v2, v10
	v_sub_u32_e32 v2, v2, v10
	v_mul_hi_u32 v10, v4, v7
	v_sub_u32_e32 v3, 0, v2
	v_max_i32_e32 v12, v2, v3
	v_mul_hi_u32 v3, v12, v6
	v_mul_lo_u32 v11, v10, s83
	v_add_u32_e32 v15, 1, v10
	v_mul_lo_u32 v13, v2, s13
	v_mul_lo_u32 v14, v3, s82
	v_sub_u32_e32 v11, v4, v11
	v_cmp_le_u32_e32 vcc, s83, v11
	v_cndmask_b32_e32 v10, v10, v15, vcc
	v_subrev_u32_e32 v15, s83, v11
	v_cndmask_b32_e32 v11, v11, v15, vcc
	v_add_u32_e32 v15, 1, v10
	v_cmp_le_u32_e32 vcc, s83, v11
	v_xor_b32_e32 v3, s87, v1
	v_cndmask_b32_e32 v10, v10, v15, vcc
	v_xor_b32_e32 v10, v10, v3
	v_sub_u32_e32 v11, v10, v3
	v_sub_u32_e32 v3, 0, v11
	v_max_i32_e32 v15, v11, v3
	v_mul_hi_u32 v10, v15, v8
	v_sub_u32_e32 v12, v12, v14
	v_sub_u32_e32 v3, v0, v13
	v_subrev_u32_e32 v13, s82, v12
	v_cmp_le_u32_e32 vcc, s82, v12
	v_mul_lo_u32 v14, v10, s84
	v_cndmask_b32_e32 v10, v12, v13, vcc
	v_mul_hi_u32 v12, v4, v9
	v_cmp_le_u32_e64 s[0:1], s82, v10
	v_sub_u32_e32 v13, v15, v14
	v_subrev_u32_e32 v14, s84, v13
	v_mul_lo_u32 v15, v12, s85
	v_cmp_le_u32_e32 vcc, s84, v13
	v_cndmask_b32_e32 v13, v13, v14, vcc
	v_cmp_le_u32_e64 s[6:7], s84, v13
	v_sub_u32_e32 v4, v4, v15
	v_subrev_u32_e32 v14, s85, v4
	v_cmp_le_u32_e64 s[2:3], s85, v4
	v_cndmask_b32_e64 v4, v4, v14, s[2:3]
	v_cmp_le_u32_e64 s[4:5], s85, v4
	s_andn2_b64 vcc, exec, s[26:27]
                                        ; implicit-def: $vgpr4
	s_cbranch_vccnz .LBB87_5
; %bb.4:                                ;   in Loop: Header=BB87_3 Depth=1
	v_ashrrev_i32_e32 v4, 31, v3
	s_mov_b64 s[72:73], 0
.LBB87_5:                               ;   in Loop: Header=BB87_3 Depth=1
	v_subrev_u32_e32 v14, s82, v10
	v_ashrrev_i32_e32 v2, 31, v2
	v_cndmask_b32_e64 v10, v10, v14, s[0:1]
	v_xor_b32_e32 v10, v10, v2
	v_sub_u32_e32 v10, v10, v2
	v_ashrrev_i32_e32 v2, 31, v11
	v_subrev_u32_e32 v11, s84, v13
	v_cndmask_b32_e64 v11, v13, v11, s[6:7]
	v_xor_b32_e32 v13, s88, v1
	v_add_u32_e32 v1, 1, v12
	v_xor_b32_e32 v11, v11, v2
	v_cndmask_b32_e64 v1, v12, v1, s[2:3]
	v_sub_u32_e32 v11, v11, v2
	v_add_u32_e32 v2, 1, v1
	v_cndmask_b32_e64 v1, v1, v2, s[4:5]
	v_xor_b32_e32 v12, v1, v13
	v_mov_b32_e32 v1, 0
	v_mov_b32_e32 v2, 0
	s_andn2_b64 vcc, exec, s[72:73]
	v_sub_u32_e32 v12, v12, v13
	s_cbranch_vccnz .LBB87_19
; %bb.6:                                ;   in Loop: Header=BB87_3 Depth=1
	v_ashrrev_i32_e32 v4, 31, v3
	v_mul_lo_u32 v15, s37, v3
	v_mul_lo_u32 v16, s36, v4
	v_mad_u64_u32 v[1:2], s[0:1], s36, v3, 0
	v_mul_lo_u32 v17, v10, s22
	v_mul_lo_u32 v13, v12, s20
	v_add3_u32 v2, v2, v16, v15
	v_lshlrev_b64 v[1:2], 2, v[1:2]
	v_mul_lo_u32 v14, v11, s21
	v_mov_b32_e32 v16, s78
	v_add_co_u32_e32 v15, vcc, s12, v1
	v_addc_co_u32_e32 v16, vcc, v16, v2, vcc
	v_mov_b32_e32 v1, 0
	v_add_u32_e32 v17, s69, v17
	s_mov_b32 s90, 0
	v_mov_b32_e32 v2, 0
	s_mov_b64 s[2:3], s[24:25]
	s_branch .LBB87_8
.LBB87_7:                               ;   in Loop: Header=BB87_8 Depth=2
	s_add_i32 s90, s90, 1
	s_add_u32 s2, s2, s60
	s_addc_u32 s3, s3, s61
	s_cmp_eq_u32 s90, s11
	s_cbranch_scc1 .LBB87_19
.LBB87_8:                               ;   Parent Loop BB87_3 Depth=1
                                        ; =>  This Loop Header: Depth=2
                                        ;       Child Loop BB87_11 Depth 3
                                        ;         Child Loop BB87_14 Depth 4
                                        ;           Child Loop BB87_17 Depth 5
	s_andn2_b64 vcc, exec, s[34:35]
	s_cbranch_vccnz .LBB87_7
; %bb.9:                                ;   in Loop: Header=BB87_8 Depth=2
	s_mul_i32 s0, s47, s90
	s_mul_hi_u32 s1, s46, s90
	s_add_i32 s1, s1, s0
	s_mul_i32 s0, s46, s90
	s_lshl_b64 s[0:1], s[0:1], 2
	v_mov_b32_e32 v19, s1
	v_add_co_u32_e32 v18, vcc, s0, v15
	v_addc_co_u32_e32 v19, vcc, v16, v19, vcc
	s_mov_b32 s91, 0
	s_mov_b64 s[4:5], s[2:3]
	s_branch .LBB87_11
.LBB87_10:                              ;   in Loop: Header=BB87_11 Depth=3
	s_add_i32 s91, s91, 1
	s_add_u32 s4, s4, s62
	s_addc_u32 s5, s5, s63
	s_cmp_eq_u32 s91, s14
	s_cbranch_scc1 .LBB87_7
.LBB87_11:                              ;   Parent Loop BB87_3 Depth=1
                                        ;     Parent Loop BB87_8 Depth=2
                                        ; =>    This Loop Header: Depth=3
                                        ;         Child Loop BB87_14 Depth 4
                                        ;           Child Loop BB87_17 Depth 5
	s_andn2_b64 vcc, exec, s[38:39]
	s_cbranch_vccnz .LBB87_10
; %bb.12:                               ;   in Loop: Header=BB87_11 Depth=3
	s_mul_i32 s0, s91, s17
	s_sub_i32 s0, s0, s23
	v_add_u32_e32 v23, s0, v13
	v_mad_u64_u32 v[20:21], s[0:1], s44, v23, 0
	v_cmp_gt_i32_e32 vcc, 0, v23
	s_mov_b32 s92, 0
	v_mad_u64_u32 v[21:22], s[0:1], s45, v23, v[21:22]
	v_cmp_le_i32_e64 s[0:1], s8, v23
	s_or_b64 s[6:7], vcc, s[0:1]
	v_lshlrev_b64 v[20:21], 2, v[20:21]
	s_mov_b64 s[72:73], s[4:5]
	v_add_co_u32_e32 v20, vcc, v18, v20
	v_addc_co_u32_e32 v21, vcc, v19, v21, vcc
	s_branch .LBB87_14
.LBB87_13:                              ;   in Loop: Header=BB87_14 Depth=4
	s_add_i32 s92, s92, 1
	s_add_u32 s72, s72, s66
	s_addc_u32 s73, s73, s67
	s_cmp_eq_u32 s92, s15
	s_cbranch_scc1 .LBB87_10
.LBB87_14:                              ;   Parent Loop BB87_3 Depth=1
                                        ;     Parent Loop BB87_8 Depth=2
                                        ;       Parent Loop BB87_11 Depth=3
                                        ; =>      This Loop Header: Depth=4
                                        ;           Child Loop BB87_17 Depth 5
	s_andn2_b64 vcc, exec, s[56:57]
	s_cbranch_vccnz .LBB87_13
; %bb.15:                               ;   in Loop: Header=BB87_14 Depth=4
	s_mul_i32 s0, s92, s18
	s_sub_i32 s0, s0, s68
	v_add_u32_e32 v25, s0, v14
	v_mad_u64_u32 v[22:23], s[0:1], s42, v25, 0
	v_cmp_gt_i32_e32 vcc, 0, v25
	s_mov_b64 s[76:77], s[72:73]
	v_mad_u64_u32 v[23:24], s[0:1], s43, v25, v[23:24]
	v_cmp_le_i32_e64 s[0:1], s9, v25
	s_or_b64 s[0:1], vcc, s[0:1]
	v_lshlrev_b64 v[22:23], 2, v[22:23]
	s_or_b64 s[74:75], s[6:7], s[0:1]
	v_add_co_u32_e32 v22, vcc, v20, v22
	v_addc_co_u32_e32 v23, vcc, v21, v23, vcc
	v_mov_b32_e32 v24, v17
	s_mov_b32 s93, s16
	s_branch .LBB87_17
.LBB87_16:                              ;   in Loop: Header=BB87_17 Depth=5
	s_or_b64 exec, exec, s[0:1]
	s_add_i32 s93, s93, -1
	s_add_u32 s76, s76, s64
	s_addc_u32 s77, s77, s65
	s_cmp_eq_u32 s93, 0
	v_add_u32_e32 v24, s19, v24
	s_cbranch_scc1 .LBB87_13
.LBB87_17:                              ;   Parent Loop BB87_3 Depth=1
                                        ;     Parent Loop BB87_8 Depth=2
                                        ;       Parent Loop BB87_11 Depth=3
                                        ;         Parent Loop BB87_14 Depth=4
                                        ; =>        This Inner Loop Header: Depth=5
	v_cmp_gt_i32_e32 vcc, 0, v24
	v_cmp_le_i32_e64 s[0:1], s10, v24
	s_or_b64 s[0:1], vcc, s[0:1]
	s_nor_b64 s[94:95], s[74:75], s[0:1]
	s_and_saveexec_b64 s[0:1], s[94:95]
	s_cbranch_execz .LBB87_16
; %bb.18:                               ;   in Loop: Header=BB87_17 Depth=5
	v_mad_u64_u32 v[25:26], s[94:95], s40, v24, 0
	v_mad_u64_u32 v[26:27], s[94:95], s41, v24, v[26:27]
	s_load_dword s94, s[76:77], 0x0
	v_lshlrev_b64 v[25:26], 2, v[25:26]
	v_add_co_u32_e32 v25, vcc, v22, v25
	v_addc_co_u32_e32 v26, vcc, v23, v26, vcc
	global_load_dword v25, v[25:26], off
	s_waitcnt lgkmcnt(0)
	v_cvt_f64_f32_e32 v[27:28], s94
	s_waitcnt vmcnt(0)
	v_cvt_f64_f32_e32 v[25:26], v25
	v_fma_f64 v[1:2], v[25:26], v[27:28], v[1:2]
	s_branch .LBB87_16
.LBB87_19:                              ;   in Loop: Header=BB87_3 Depth=1
	v_ashrrev_i32_e32 v13, 31, v12
	v_mul_lo_u32 v16, s55, v12
	v_mul_lo_u32 v17, s54, v13
	v_mad_u64_u32 v[12:13], s[0:1], s54, v12, 0
	v_ashrrev_i32_e32 v14, 31, v11
	v_mul_lo_u32 v18, s53, v11
	v_mul_lo_u32 v19, s52, v14
	v_mad_u64_u32 v[14:15], s[0:1], s52, v11, 0
	v_ashrrev_i32_e32 v11, 31, v10
	v_add3_u32 v13, v13, v17, v16
	v_mul_lo_u32 v20, s51, v10
	v_mul_lo_u32 v21, s50, v11
	v_mad_u64_u32 v[10:11], s[0:1], s50, v10, 0
	v_lshlrev_b64 v[12:13], 2, v[12:13]
	v_mul_lo_u32 v22, v4, s48
	v_mul_lo_u32 v23, v3, s49
	v_mad_u64_u32 v[3:4], s[0:1], v3, s48, 0
	v_add3_u32 v15, v15, v19, v18
	v_mov_b32_e32 v16, s80
	v_add_co_u32_e32 v17, vcc, s79, v12
	v_addc_co_u32_e32 v16, vcc, v16, v13, vcc
	v_lshlrev_b64 v[12:13], 2, v[14:15]
	v_add3_u32 v11, v11, v21, v20
	v_add3_u32 v4, v4, v23, v22
	v_add_co_u32_e32 v12, vcc, v17, v12
	v_lshlrev_b64 v[10:11], 2, v[10:11]
	v_addc_co_u32_e32 v13, vcc, v16, v13, vcc
	v_lshlrev_b64 v[3:4], 2, v[3:4]
	v_add_co_u32_e32 v10, vcc, v12, v10
	v_addc_co_u32_e32 v11, vcc, v13, v11, vcc
	v_add_co_u32_e64 v3, s[0:1], v10, v3
	s_andn2_b64 vcc, exec, s[58:59]
	v_addc_co_u32_e64 v4, s[0:1], v11, v4, s[0:1]
	s_cbranch_vccnz .LBB87_2
; %bb.20:                               ;   in Loop: Header=BB87_3 Depth=1
	global_load_dword v10, v[3:4], off
	s_waitcnt vmcnt(0)
	v_cvt_f64_f32_e32 v[10:11], v10
	v_mul_f64 v[10:11], s[30:31], v[10:11]
	v_fma_f64 v[1:2], s[28:29], v[1:2], v[10:11]
	s_branch .LBB87_2
.LBB87_21:
	s_endpgm
	.section	.rodata,"a",@progbits
	.p2align	6, 0x0
	.amdhsa_kernel naive_conv_ab_nonpacked_wrw_ndhwc_float_double_float
		.amdhsa_group_segment_fixed_size 0
		.amdhsa_private_segment_fixed_size 0
		.amdhsa_kernarg_size 528
		.amdhsa_user_sgpr_count 6
		.amdhsa_user_sgpr_private_segment_buffer 1
		.amdhsa_user_sgpr_dispatch_ptr 0
		.amdhsa_user_sgpr_queue_ptr 0
		.amdhsa_user_sgpr_kernarg_segment_ptr 1
		.amdhsa_user_sgpr_dispatch_id 0
		.amdhsa_user_sgpr_flat_scratch_init 0
		.amdhsa_user_sgpr_private_segment_size 0
		.amdhsa_uses_dynamic_stack 0
		.amdhsa_system_sgpr_private_segment_wavefront_offset 0
		.amdhsa_system_sgpr_workgroup_id_x 1
		.amdhsa_system_sgpr_workgroup_id_y 0
		.amdhsa_system_sgpr_workgroup_id_z 0
		.amdhsa_system_sgpr_workgroup_info 0
		.amdhsa_system_vgpr_workitem_id 0
		.amdhsa_next_free_vgpr 29
		.amdhsa_next_free_sgpr 96
		.amdhsa_reserve_vcc 1
		.amdhsa_reserve_flat_scratch 0
		.amdhsa_float_round_mode_32 0
		.amdhsa_float_round_mode_16_64 0
		.amdhsa_float_denorm_mode_32 3
		.amdhsa_float_denorm_mode_16_64 3
		.amdhsa_dx10_clamp 1
		.amdhsa_ieee_mode 1
		.amdhsa_fp16_overflow 0
		.amdhsa_exception_fp_ieee_invalid_op 0
		.amdhsa_exception_fp_denorm_src 0
		.amdhsa_exception_fp_ieee_div_zero 0
		.amdhsa_exception_fp_ieee_overflow 0
		.amdhsa_exception_fp_ieee_underflow 0
		.amdhsa_exception_fp_ieee_inexact 0
		.amdhsa_exception_int_div_zero 0
	.end_amdhsa_kernel
	.text
.Lfunc_end87:
	.size	naive_conv_ab_nonpacked_wrw_ndhwc_float_double_float, .Lfunc_end87-naive_conv_ab_nonpacked_wrw_ndhwc_float_double_float
                                        ; -- End function
	.set naive_conv_ab_nonpacked_wrw_ndhwc_float_double_float.num_vgpr, 29
	.set naive_conv_ab_nonpacked_wrw_ndhwc_float_double_float.num_agpr, 0
	.set naive_conv_ab_nonpacked_wrw_ndhwc_float_double_float.numbered_sgpr, 96
	.set naive_conv_ab_nonpacked_wrw_ndhwc_float_double_float.num_named_barrier, 0
	.set naive_conv_ab_nonpacked_wrw_ndhwc_float_double_float.private_seg_size, 0
	.set naive_conv_ab_nonpacked_wrw_ndhwc_float_double_float.uses_vcc, 1
	.set naive_conv_ab_nonpacked_wrw_ndhwc_float_double_float.uses_flat_scratch, 0
	.set naive_conv_ab_nonpacked_wrw_ndhwc_float_double_float.has_dyn_sized_stack, 0
	.set naive_conv_ab_nonpacked_wrw_ndhwc_float_double_float.has_recursion, 0
	.set naive_conv_ab_nonpacked_wrw_ndhwc_float_double_float.has_indirect_call, 0
	.section	.AMDGPU.csdata,"",@progbits
; Kernel info:
; codeLenInByte = 1996
; TotalNumSgprs: 100
; NumVgprs: 29
; ScratchSize: 0
; MemoryBound: 0
; FloatMode: 240
; IeeeMode: 1
; LDSByteSize: 0 bytes/workgroup (compile time only)
; SGPRBlocks: 12
; VGPRBlocks: 7
; NumSGPRsForWavesPerEU: 100
; NumVGPRsForWavesPerEU: 29
; Occupancy: 8
; WaveLimiterHint : 0
; COMPUTE_PGM_RSRC2:SCRATCH_EN: 0
; COMPUTE_PGM_RSRC2:USER_SGPR: 6
; COMPUTE_PGM_RSRC2:TRAP_HANDLER: 0
; COMPUTE_PGM_RSRC2:TGID_X_EN: 1
; COMPUTE_PGM_RSRC2:TGID_Y_EN: 0
; COMPUTE_PGM_RSRC2:TGID_Z_EN: 0
; COMPUTE_PGM_RSRC2:TIDIG_COMP_CNT: 0
	.text
	.protected	naive_conv_ab_packed_wrw_ndhwc_half_double_half ; -- Begin function naive_conv_ab_packed_wrw_ndhwc_half_double_half
	.globl	naive_conv_ab_packed_wrw_ndhwc_half_double_half
	.p2align	8
	.type	naive_conv_ab_packed_wrw_ndhwc_half_double_half,@function
naive_conv_ab_packed_wrw_ndhwc_half_double_half: ; @naive_conv_ab_packed_wrw_ndhwc_half_double_half
; %bb.0:
	s_load_dwordx16 s[8:23], s[4:5], 0xb8
	s_load_dwordx2 s[0:1], s[4:5], 0x108
	s_load_dwordx4 s[36:39], s[4:5], 0xf8
	s_waitcnt lgkmcnt(0)
	s_abs_i32 s34, s12
	v_cvt_f32_u32_e32 v1, s34
	s_mul_i32 s46, s0, s13
	s_mul_i32 s7, s46, s39
	;; [unrolled: 1-line block ×3, first 2 shown]
	v_rcp_iflag_f32_e32 v1, v1
	v_cmp_gt_i32_e32 vcc, s33, v0
	v_mul_f32_e32 v1, 0x4f7ffffe, v1
	v_cvt_u32_f32_e32 v1, v1
	v_readfirstlane_b32 s35, v1
	s_and_saveexec_b64 s[2:3], vcc
	s_cbranch_execz .LBB88_23
; %bb.1:
	s_sub_i32 s43, 0, s34
	s_mul_i32 s43, s43, s35
	s_mul_hi_u32 s43, s35, s43
	s_abs_i32 s42, s6
	s_add_i32 s35, s35, s43
	s_ashr_i32 s40, s6, 31
	s_ashr_i32 s41, s12, 31
	s_mul_hi_u32 s35, s42, s35
	s_xor_b32 s40, s40, s41
	s_mul_i32 s41, s35, s34
	s_sub_i32 s41, s42, s41
	s_add_i32 s42, s35, 1
	s_sub_i32 s43, s41, s34
	s_cmp_ge_u32 s41, s34
	s_cselect_b32 s35, s42, s35
	s_cselect_b32 s41, s43, s41
	s_add_i32 s42, s35, 1
	s_cmp_ge_u32 s41, s34
	s_cselect_b32 s34, s42, s35
	s_load_dwordx8 s[24:31], s[4:5], 0x0
	s_load_dwordx2 s[2:3], s[4:5], 0x20
	s_xor_b32 s34, s34, s40
	s_sub_i32 s35, s34, s40
	s_mul_i32 s34, s35, s12
	s_mul_hi_i32 s43, s35, s13
	s_mul_i32 s42, s35, s13
	s_sub_i32 s40, s6, s34
	s_ashr_i32 s58, s13, 31
	s_lshl_b64 s[42:43], s[42:43], 1
	s_waitcnt lgkmcnt(0)
	s_add_u32 s59, s24, s42
	s_addc_u32 s60, s25, s43
	s_ashr_i32 s6, s39, 31
	s_ashr_i32 s61, s0, 31
	;; [unrolled: 1-line block ×3, first 2 shown]
	s_mul_hi_i32 s42, s38, s13
	s_mul_i32 s38, s38, s13
	s_mul_hi_i32 s35, s35, s12
	s_add_u32 s24, s34, s40
	s_mul_i32 s6, s38, s6
	s_mul_hi_u32 s43, s38, s39
	s_addc_u32 s25, s35, s41
	s_add_i32 s6, s43, s6
	s_mul_i32 s42, s42, s39
	s_mul_i32 s38, s38, s39
	s_add_i32 s6, s6, s42
	s_mul_i32 s42, s38, s61
	s_mul_hi_u32 s43, s38, s0
	s_add_i32 s42, s43, s42
	s_mul_i32 s6, s6, s0
	s_mul_i32 s38, s38, s0
	s_add_i32 s6, s42, s6
	s_mul_i32 s25, s38, s25
	s_mul_hi_u32 s42, s38, s24
	s_add_i32 s25, s42, s25
	s_mul_i32 s6, s6, s24
	s_add_i32 s25, s25, s6
	s_mul_i32 s24, s38, s24
	s_lshl_b64 s[24:25], s[24:25], 1
	s_add_u32 s63, s26, s24
	s_addc_u32 s64, s27, s25
	s_lshl_b64 s[24:25], s[34:35], 1
	s_load_dword s6, s[4:5], 0x11c
	s_add_u32 s4, s2, s24
	s_addc_u32 s5, s3, s25
	s_lshl_b64 s[2:3], s[40:41], 1
	s_add_u32 s24, s4, s2
	s_addc_u32 s25, s5, s3
	s_cmp_lt_i32 s11, 1
	s_cselect_b64 s[26:27], -1, 0
	s_cmp_gt_i32 s14, 0
	s_cselect_b64 s[34:35], -1, 0
	s_cmp_gt_i32 s15, 0
	s_cselect_b64 s[40:41], -1, 0
	s_cmp_gt_i32 s16, 0
	s_cselect_b64 s[42:43], -1, 0
	s_abs_i32 s66, s13
	v_cvt_f32_u32_e32 v1, s66
	s_abs_i32 s67, s0
	v_cvt_f32_u32_e32 v2, s67
	s_mov_b32 s62, s0
	v_rcp_iflag_f32_e32 v1, v1
	s_sub_i32 s0, 0, s66
	v_rcp_iflag_f32_e32 v2, v2
	s_abs_i32 s68, s46
	v_mul_f32_e32 v1, 0x4f7ffffe, v1
	v_cvt_u32_f32_e32 v1, v1
	v_mul_f32_e32 v2, 0x4f7ffffe, v2
	v_cvt_u32_f32_e32 v2, v2
	v_cvt_f32_u32_e32 v5, s68
	v_mul_lo_u32 v3, s0, v1
	s_sub_i32 s0, 0, s67
	v_mul_lo_u32 v4, s0, v2
	s_abs_i32 s70, s39
	v_mul_hi_u32 v3, v1, v3
	s_abs_i32 s71, s7
	v_mul_hi_u32 v4, v2, v4
	v_rcp_iflag_f32_e32 v5, v5
	v_add_u32_e32 v11, v1, v3
	v_cvt_f32_u32_e32 v3, s71
	v_add_u32_e32 v13, v2, v4
	v_cvt_f32_u32_e32 v2, s70
	v_mul_f32_e32 v1, 0x4f7ffffe, v5
	v_rcp_iflag_f32_e32 v3, v3
	v_cmp_neq_f64_e64 s[4:5], s[28:29], 1.0
	v_rcp_iflag_f32_e32 v2, v2
	v_cmp_neq_f64_e64 s[44:45], s[30:31], 0
	v_cvt_u32_f32_e32 v1, v1
	v_mul_f32_e32 v3, 0x4f7ffffe, v3
	v_mul_f32_e32 v2, 0x4f7ffffe, v2
	v_cvt_u32_f32_e32 v2, v2
	v_cvt_u32_f32_e32 v3, v3
	s_sub_i32 s0, 0, s68
	v_mul_lo_u32 v4, s0, v1
	s_sub_i32 s0, 0, s70
	v_mul_lo_u32 v5, s0, v2
	s_sub_i32 s0, 0, s71
	s_mul_i32 s2, s1, s12
	v_mul_lo_u32 v6, s0, v3
	s_ashr_i32 s3, s2, 31
	s_mul_i32 s0, s16, s15
	s_mul_i32 s65, s1, s13
	s_or_b64 s[44:45], s[4:5], s[44:45]
	s_mul_hi_u32 s1, s0, s2
	s_mul_i32 s4, s0, s3
	s_add_i32 s1, s1, s4
	s_mul_hi_i32 s4, s16, s15
	s_ashr_i32 s12, s14, 31
	v_mul_hi_u32 v4, v1, v4
	v_mul_hi_u32 v5, v2, v5
	;; [unrolled: 1-line block ×3, first 2 shown]
	s_mul_i32 s4, s4, s2
	s_mul_i32 s0, s0, s2
	s_add_i32 s1, s1, s4
	s_mul_hi_u32 s4, s0, s14
	s_mul_i32 s5, s0, s12
	s_add_i32 s4, s4, s5
	s_mul_i32 s5, s1, s14
	s_add_i32 s5, s4, s5
	s_mul_i32 s4, s0, s14
	s_lshl_b64 s[48:49], s[0:1], 1
	s_mul_hi_i32 s1, s16, s2
	s_mul_i32 s0, s16, s2
	s_waitcnt lgkmcnt(0)
	s_and_b32 s69, s6, 0xffff
	v_mov_b32_e32 v12, 0
	s_ashr_i32 s72, s46, 31
	v_add_u32_e32 v14, v1, v4
	v_add_u32_e32 v15, v2, v5
	s_ashr_i32 s73, s7, 31
	v_add_u32_e32 v16, v3, v6
	s_lshl_b64 s[46:47], s[4:5], 1
	s_lshl_b64 s[50:51], s[0:1], 1
	;; [unrolled: 1-line block ×3, first 2 shown]
	v_mov_b32_e32 v17, 0x7c00
	v_mov_b32_e32 v18, 0x7e00
	s_mov_b32 s74, s13
	s_mov_b32 s75, s39
	s_ashr_i32 s76, s8, 31
	s_mov_b32 s77, s8
	s_ashr_i32 s78, s9, 31
	;; [unrolled: 2-line block ×4, first 2 shown]
	s_sub_i32 s37, 0, s37
	s_movk_i32 s83, 0x1ff
	s_movk_i32 s84, 0xffe
	;; [unrolled: 1-line block ×3, first 2 shown]
	s_mov_b32 s86, 0x8000
	s_mov_b64 s[12:13], 0
	s_branch .LBB88_3
.LBB88_2:                               ;   in Loop: Header=BB88_3 Depth=1
	v_add_u32_e32 v0, s69, v0
	v_cmp_le_i32_e32 vcc, s33, v0
	s_or_b64 s[12:13], vcc, s[12:13]
	s_andn2_b64 exec, exec, s[12:13]
	s_cbranch_execz .LBB88_23
.LBB88_3:                               ; =>This Loop Header: Depth=1
                                        ;     Child Loop BB88_8 Depth 2
                                        ;       Child Loop BB88_11 Depth 3
                                        ;         Child Loop BB88_14 Depth 4
                                        ;           Child Loop BB88_17 Depth 5
	v_sub_u32_e32 v1, 0, v0
	v_max_i32_e32 v4, v0, v1
	v_mul_hi_u32 v2, v4, v11
	v_ashrrev_i32_e32 v1, 31, v0
	v_xor_b32_e32 v5, s58, v1
	s_mov_b64 s[38:39], -1
	v_mul_lo_u32 v3, v2, s66
	v_add_u32_e32 v6, 1, v2
	v_sub_u32_e32 v3, v4, v3
	v_cmp_le_u32_e32 vcc, s66, v3
	v_cndmask_b32_e32 v2, v2, v6, vcc
	v_subrev_u32_e32 v6, s66, v3
	v_cndmask_b32_e32 v3, v3, v6, vcc
	v_add_u32_e32 v6, 1, v2
	v_cmp_le_u32_e32 vcc, s66, v3
	v_cndmask_b32_e32 v2, v2, v6, vcc
	v_xor_b32_e32 v2, v2, v5
	v_sub_u32_e32 v2, v2, v5
	v_mul_hi_u32 v5, v4, v14
	v_sub_u32_e32 v3, 0, v2
	v_max_i32_e32 v7, v2, v3
	v_mul_hi_u32 v3, v7, v13
	v_mul_lo_u32 v6, v5, s68
	v_add_u32_e32 v10, 1, v5
	v_mul_lo_u32 v8, v2, s74
	v_mul_lo_u32 v9, v3, s67
	v_sub_u32_e32 v6, v4, v6
	v_cmp_le_u32_e32 vcc, s68, v6
	v_cndmask_b32_e32 v5, v5, v10, vcc
	v_subrev_u32_e32 v10, s68, v6
	v_cndmask_b32_e32 v6, v6, v10, vcc
	v_add_u32_e32 v10, 1, v5
	v_cmp_le_u32_e32 vcc, s68, v6
	v_xor_b32_e32 v3, s72, v1
	v_cndmask_b32_e32 v5, v5, v10, vcc
	v_xor_b32_e32 v5, v5, v3
	v_sub_u32_e32 v6, v5, v3
	v_sub_u32_e32 v3, 0, v6
	v_max_i32_e32 v10, v6, v3
	v_mul_hi_u32 v5, v10, v15
	v_sub_u32_e32 v7, v7, v9
	v_sub_u32_e32 v3, v0, v8
	v_subrev_u32_e32 v8, s67, v7
	v_cmp_le_u32_e32 vcc, s67, v7
	v_mul_lo_u32 v9, v5, s70
	v_cndmask_b32_e32 v5, v7, v8, vcc
	v_mul_hi_u32 v7, v4, v16
	v_cmp_le_u32_e64 s[0:1], s67, v5
	v_sub_u32_e32 v8, v10, v9
	v_subrev_u32_e32 v9, s70, v8
	v_mul_lo_u32 v10, v7, s71
	v_cmp_le_u32_e32 vcc, s70, v8
	v_cndmask_b32_e32 v8, v8, v9, vcc
	v_cmp_le_u32_e64 s[6:7], s70, v8
	v_sub_u32_e32 v4, v4, v10
	v_subrev_u32_e32 v9, s71, v4
	v_cmp_le_u32_e64 s[2:3], s71, v4
	v_cndmask_b32_e64 v4, v4, v9, s[2:3]
	v_cmp_le_u32_e64 s[4:5], s71, v4
	s_andn2_b64 vcc, exec, s[26:27]
	s_cbranch_vccnz .LBB88_5
; %bb.4:                                ;   in Loop: Header=BB88_3 Depth=1
	v_ashrrev_i32_e32 v4, 31, v3
	s_mov_b64 s[38:39], 0
.LBB88_5:                               ;   in Loop: Header=BB88_3 Depth=1
	v_subrev_u32_e32 v9, s67, v5
	v_ashrrev_i32_e32 v2, 31, v2
	v_cndmask_b32_e64 v5, v5, v9, s[0:1]
	v_xor_b32_e32 v5, v5, v2
	v_sub_u32_e32 v5, v5, v2
	v_ashrrev_i32_e32 v2, 31, v6
	v_subrev_u32_e32 v6, s70, v8
	v_cndmask_b32_e64 v6, v8, v6, s[6:7]
	v_xor_b32_e32 v8, s73, v1
	v_add_u32_e32 v1, 1, v7
	v_xor_b32_e32 v6, v6, v2
	v_cndmask_b32_e64 v1, v7, v1, s[2:3]
	v_sub_u32_e32 v6, v6, v2
	v_add_u32_e32 v2, 1, v1
	v_cndmask_b32_e64 v1, v1, v2, s[4:5]
	v_xor_b32_e32 v7, v1, v8
	v_mov_b32_e32 v1, 0
	v_mov_b32_e32 v2, 0
	s_andn2_b64 vcc, exec, s[38:39]
	v_sub_u32_e32 v19, v7, v8
	s_cbranch_vccnz .LBB88_19
; %bb.6:                                ;   in Loop: Header=BB88_3 Depth=1
	v_ashrrev_i32_e32 v4, 31, v3
	v_mul_lo_u32 v7, v5, s22
	v_lshlrev_b64 v[1:2], 1, v[3:4]
	v_mul_lo_u32 v20, v19, s20
	v_mul_lo_u32 v21, v6, s21
	v_mov_b32_e32 v8, s60
	v_add_co_u32_e32 v22, vcc, s59, v1
	v_addc_co_u32_e32 v23, vcc, v8, v2, vcc
	v_mov_b32_e32 v1, 0
	v_add_u32_e32 v24, s37, v7
	s_mov_b32 s87, 0
	v_mov_b32_e32 v2, 0
	s_mov_b64 s[2:3], s[24:25]
	s_branch .LBB88_8
.LBB88_7:                               ;   in Loop: Header=BB88_8 Depth=2
	s_add_i32 s87, s87, 1
	s_add_u32 s2, s2, s46
	s_addc_u32 s3, s3, s47
	s_cmp_eq_u32 s87, s11
	s_cbranch_scc1 .LBB88_19
.LBB88_8:                               ;   Parent Loop BB88_3 Depth=1
                                        ; =>  This Loop Header: Depth=2
                                        ;       Child Loop BB88_11 Depth 3
                                        ;         Child Loop BB88_14 Depth 4
                                        ;           Child Loop BB88_17 Depth 5
	s_andn2_b64 vcc, exec, s[34:35]
	s_cbranch_vccnz .LBB88_7
; %bb.9:                                ;   in Loop: Header=BB88_8 Depth=2
	s_mul_i32 s0, s87, s76
	s_mul_hi_u32 s1, s87, s77
	s_add_i32 s88, s1, s0
	s_mul_i32 s89, s87, s77
	s_mov_b32 s90, 0
	s_mov_b64 s[4:5], s[2:3]
	s_branch .LBB88_11
.LBB88_10:                              ;   in Loop: Header=BB88_11 Depth=3
	s_add_i32 s90, s90, 1
	s_add_u32 s4, s4, s48
	s_addc_u32 s5, s5, s49
	s_cmp_eq_u32 s90, s14
	s_cbranch_scc1 .LBB88_7
.LBB88_11:                              ;   Parent Loop BB88_3 Depth=1
                                        ;     Parent Loop BB88_8 Depth=2
                                        ; =>    This Loop Header: Depth=3
                                        ;         Child Loop BB88_14 Depth 4
                                        ;           Child Loop BB88_17 Depth 5
	s_andn2_b64 vcc, exec, s[40:41]
	s_cbranch_vccnz .LBB88_10
; %bb.12:                               ;   in Loop: Header=BB88_11 Depth=3
	s_mul_i32 s0, s90, s17
	s_sub_i32 s0, s0, s23
	v_add_u32_e32 v9, s0, v20
	v_mov_b32_e32 v7, s88
	v_add_co_u32_e32 v8, vcc, s89, v9
	v_addc_co_u32_e32 v7, vcc, 0, v7, vcc
	v_mul_lo_u32 v10, v7, s79
	v_mul_lo_u32 v25, v8, s78
	v_mad_u64_u32 v[7:8], s[0:1], v8, s79, 0
	v_cmp_gt_i32_e32 vcc, 0, v9
	v_cmp_le_i32_e64 s[0:1], s8, v9
	s_mov_b32 s91, 0
	s_or_b64 s[6:7], vcc, s[0:1]
	v_add3_u32 v8, v8, v25, v10
	s_mov_b64 s[38:39], s[4:5]
	s_branch .LBB88_14
.LBB88_13:                              ;   in Loop: Header=BB88_14 Depth=4
	s_add_i32 s91, s91, 1
	s_add_u32 s38, s38, s50
	s_addc_u32 s39, s39, s51
	s_cmp_eq_u32 s91, s15
	s_cbranch_scc1 .LBB88_10
.LBB88_14:                              ;   Parent Loop BB88_3 Depth=1
                                        ;     Parent Loop BB88_8 Depth=2
                                        ;       Parent Loop BB88_11 Depth=3
                                        ; =>      This Loop Header: Depth=4
                                        ;           Child Loop BB88_17 Depth 5
	s_andn2_b64 vcc, exec, s[42:43]
	s_cbranch_vccnz .LBB88_13
; %bb.15:                               ;   in Loop: Header=BB88_14 Depth=4
	s_mul_i32 s0, s91, s18
	s_sub_i32 s0, s0, s36
	v_add_u32_e32 v25, s0, v21
	v_add_co_u32_e64 v9, s[0:1], v7, v25
	v_addc_co_u32_e64 v10, s[0:1], 0, v8, s[0:1]
	v_mul_lo_u32 v26, v10, s81
	v_mul_lo_u32 v27, v9, s80
	v_mad_u64_u32 v[9:10], s[0:1], v9, s81, 0
	v_cmp_gt_i32_e32 vcc, 0, v25
	v_cmp_le_i32_e64 s[0:1], s9, v25
	s_or_b64 s[0:1], vcc, s[0:1]
	s_or_b64 s[54:55], s[6:7], s[0:1]
	v_add3_u32 v10, v10, v27, v26
	v_mov_b32_e32 v25, v24
	s_mov_b64 s[56:57], s[38:39]
	s_mov_b32 s92, s16
	s_branch .LBB88_17
.LBB88_16:                              ;   in Loop: Header=BB88_17 Depth=5
	s_or_b64 exec, exec, s[0:1]
	s_add_i32 s92, s92, -1
	s_add_u32 s56, s56, s52
	s_addc_u32 s57, s57, s53
	s_cmp_eq_u32 s92, 0
	v_add_u32_e32 v25, s19, v25
	s_cbranch_scc1 .LBB88_13
.LBB88_17:                              ;   Parent Loop BB88_3 Depth=1
                                        ;     Parent Loop BB88_8 Depth=2
                                        ;       Parent Loop BB88_11 Depth=3
                                        ;         Parent Loop BB88_14 Depth=4
                                        ; =>        This Inner Loop Header: Depth=5
	v_cmp_gt_i32_e32 vcc, 0, v25
	v_cmp_le_i32_e64 s[0:1], s10, v25
	s_or_b64 s[0:1], vcc, s[0:1]
	s_nor_b64 s[94:95], s[54:55], s[0:1]
	s_and_saveexec_b64 s[0:1], s[94:95]
	s_cbranch_execz .LBB88_16
; %bb.18:                               ;   in Loop: Header=BB88_17 Depth=5
	v_add_co_u32_e32 v26, vcc, v9, v25
	v_addc_co_u32_e32 v27, vcc, 0, v10, vcc
	v_mul_lo_u32 v28, v27, s65
	v_mul_lo_u32 v29, v26, s82
	v_mad_u64_u32 v[26:27], s[94:95], v26, s65, 0
	v_add3_u32 v27, v27, v29, v28
	v_lshlrev_b64 v[26:27], 1, v[26:27]
	v_add_co_u32_e32 v26, vcc, v22, v26
	v_addc_co_u32_e32 v27, vcc, v23, v27, vcc
	global_load_ushort v26, v[26:27], off
	s_nop 0
	global_load_ushort v27, v12, s[56:57]
	s_waitcnt vmcnt(1)
	v_cvt_f32_f16_e32 v26, v26
	s_waitcnt vmcnt(0)
	v_cvt_f32_f16_e32 v28, v27
	v_cvt_f64_f32_e32 v[26:27], v26
	v_cvt_f64_f32_e32 v[28:29], v28
	v_fma_f64 v[1:2], v[26:27], v[28:29], v[1:2]
	s_branch .LBB88_16
.LBB88_19:                              ;   in Loop: Header=BB88_3 Depth=1
	v_ashrrev_i32_e32 v7, 31, v6
	v_mad_i64_i32 v[7:8], s[0:1], v19, s75, v[6:7]
	v_ashrrev_i32_e32 v6, 31, v5
	s_and_b64 vcc, exec, s[44:45]
	v_mad_u64_u32 v[5:6], s[0:1], v7, s62, v[5:6]
	v_mul_lo_u32 v7, v7, s61
	v_mul_lo_u32 v8, v8, s62
	v_mad_u64_u32 v[3:4], s[0:1], v5, s74, v[3:4]
	s_mov_b64 s[0:1], -1
	v_add3_u32 v6, v8, v6, v7
	v_mul_lo_u32 v7, v5, s58
	v_mul_lo_u32 v5, v6, s74
	v_add3_u32 v4, v5, v4, v7
	s_cbranch_vccz .LBB88_21
; %bb.20:                               ;   in Loop: Header=BB88_3 Depth=1
	v_lshlrev_b64 v[5:6], 1, v[3:4]
	v_mov_b32_e32 v7, s64
	v_add_co_u32_e32 v5, vcc, s63, v5
	v_addc_co_u32_e32 v6, vcc, v7, v6, vcc
	global_load_ushort v7, v[5:6], off
	s_mov_b64 s[0:1], 0
	s_waitcnt vmcnt(0)
	v_cvt_f32_f16_e32 v7, v7
	v_cvt_f64_f32_e32 v[7:8], v7
	v_mul_f64 v[7:8], s[30:31], v[7:8]
	v_fma_f64 v[7:8], s[28:29], v[1:2], v[7:8]
	v_and_or_b32 v7, v8, s83, v7
	v_cmp_ne_u32_e32 vcc, 0, v7
	v_lshrrev_b32_e32 v9, 8, v8
	v_bfe_u32 v10, v8, 20, 11
	v_cndmask_b32_e64 v7, 0, 1, vcc
	v_sub_u32_e32 v19, 0x3f1, v10
	v_and_or_b32 v7, v9, s84, v7
	v_med3_i32 v9, v19, 0, 13
	v_or_b32_e32 v19, 0x1000, v7
	v_lshrrev_b32_e32 v21, v9, v19
	v_add_u32_e32 v10, 0xfffffc10, v10
	v_cmp_ne_u32_e32 vcc, 0, v7
	v_lshlrev_b32_e32 v9, v9, v21
	v_lshl_or_b32 v20, v10, 12, v7
	v_cndmask_b32_e32 v7, v17, v18, vcc
	v_cmp_ne_u32_e32 vcc, v9, v19
	v_cndmask_b32_e64 v9, 0, 1, vcc
	v_or_b32_e32 v9, v21, v9
	v_cmp_gt_i32_e32 vcc, 1, v10
	v_cndmask_b32_e32 v9, v20, v9, vcc
	v_and_b32_e32 v19, 7, v9
	v_cmp_lt_i32_e32 vcc, 5, v19
	v_cndmask_b32_e64 v20, 0, 1, vcc
	v_cmp_eq_u32_e32 vcc, 3, v19
	v_cndmask_b32_e64 v19, 0, 1, vcc
	v_lshrrev_b32_e32 v9, 2, v9
	v_or_b32_e32 v19, v19, v20
	v_add_u32_e32 v9, v9, v19
	v_cmp_gt_i32_e32 vcc, 31, v10
	v_cndmask_b32_e32 v9, v17, v9, vcc
	v_cmp_eq_u32_e32 vcc, s85, v10
	v_lshrrev_b32_e32 v8, 16, v8
	v_cndmask_b32_e32 v7, v9, v7, vcc
	v_and_or_b32 v7, v8, s86, v7
	global_store_short v[5:6], v7, off
.LBB88_21:                              ;   in Loop: Header=BB88_3 Depth=1
	s_andn2_b64 vcc, exec, s[0:1]
	s_cbranch_vccnz .LBB88_2
; %bb.22:                               ;   in Loop: Header=BB88_3 Depth=1
	v_and_or_b32 v1, v2, s83, v1
	v_cmp_ne_u32_e32 vcc, 0, v1
	v_cndmask_b32_e64 v1, 0, 1, vcc
	v_lshrrev_b32_e32 v5, 8, v2
	v_bfe_u32 v6, v2, 20, 11
	v_and_or_b32 v1, v5, s84, v1
	v_sub_u32_e32 v7, 0x3f1, v6
	v_or_b32_e32 v5, 0x1000, v1
	v_med3_i32 v7, v7, 0, 13
	v_lshrrev_b32_e32 v8, v7, v5
	v_lshlrev_b32_e32 v7, v7, v8
	v_cmp_ne_u32_e32 vcc, v7, v5
	v_cndmask_b32_e64 v5, 0, 1, vcc
	v_add_u32_e32 v6, 0xfffffc10, v6
	v_or_b32_e32 v5, v8, v5
	v_lshl_or_b32 v7, v6, 12, v1
	v_cmp_gt_i32_e32 vcc, 1, v6
	v_cndmask_b32_e32 v5, v7, v5, vcc
	v_and_b32_e32 v7, 7, v5
	v_cmp_lt_i32_e32 vcc, 5, v7
	v_cndmask_b32_e64 v8, 0, 1, vcc
	v_cmp_eq_u32_e32 vcc, 3, v7
	v_cndmask_b32_e64 v7, 0, 1, vcc
	v_or_b32_e32 v7, v7, v8
	v_lshrrev_b32_e32 v5, 2, v5
	v_add_u32_e32 v5, v5, v7
	v_cmp_gt_i32_e32 vcc, 31, v6
	v_cndmask_b32_e32 v5, v17, v5, vcc
	v_cmp_ne_u32_e32 vcc, 0, v1
	v_cndmask_b32_e32 v1, v17, v18, vcc
	v_cmp_eq_u32_e32 vcc, s85, v6
	v_cndmask_b32_e32 v1, v5, v1, vcc
	v_lshrrev_b32_e32 v2, 16, v2
	v_and_or_b32 v5, v2, s86, v1
	v_lshlrev_b64 v[1:2], 1, v[3:4]
	v_mov_b32_e32 v3, s64
	v_add_co_u32_e32 v1, vcc, s63, v1
	v_addc_co_u32_e32 v2, vcc, v3, v2, vcc
	global_store_short v[1:2], v5, off
	s_branch .LBB88_2
.LBB88_23:
	s_endpgm
	.section	.rodata,"a",@progbits
	.p2align	6, 0x0
	.amdhsa_kernel naive_conv_ab_packed_wrw_ndhwc_half_double_half
		.amdhsa_group_segment_fixed_size 0
		.amdhsa_private_segment_fixed_size 0
		.amdhsa_kernarg_size 528
		.amdhsa_user_sgpr_count 6
		.amdhsa_user_sgpr_private_segment_buffer 1
		.amdhsa_user_sgpr_dispatch_ptr 0
		.amdhsa_user_sgpr_queue_ptr 0
		.amdhsa_user_sgpr_kernarg_segment_ptr 1
		.amdhsa_user_sgpr_dispatch_id 0
		.amdhsa_user_sgpr_flat_scratch_init 0
		.amdhsa_user_sgpr_private_segment_size 0
		.amdhsa_uses_dynamic_stack 0
		.amdhsa_system_sgpr_private_segment_wavefront_offset 0
		.amdhsa_system_sgpr_workgroup_id_x 1
		.amdhsa_system_sgpr_workgroup_id_y 0
		.amdhsa_system_sgpr_workgroup_id_z 0
		.amdhsa_system_sgpr_workgroup_info 0
		.amdhsa_system_vgpr_workitem_id 0
		.amdhsa_next_free_vgpr 30
		.amdhsa_next_free_sgpr 96
		.amdhsa_reserve_vcc 1
		.amdhsa_reserve_flat_scratch 0
		.amdhsa_float_round_mode_32 0
		.amdhsa_float_round_mode_16_64 0
		.amdhsa_float_denorm_mode_32 3
		.amdhsa_float_denorm_mode_16_64 3
		.amdhsa_dx10_clamp 1
		.amdhsa_ieee_mode 1
		.amdhsa_fp16_overflow 0
		.amdhsa_exception_fp_ieee_invalid_op 0
		.amdhsa_exception_fp_denorm_src 0
		.amdhsa_exception_fp_ieee_div_zero 0
		.amdhsa_exception_fp_ieee_overflow 0
		.amdhsa_exception_fp_ieee_underflow 0
		.amdhsa_exception_fp_ieee_inexact 0
		.amdhsa_exception_int_div_zero 0
	.end_amdhsa_kernel
	.text
.Lfunc_end88:
	.size	naive_conv_ab_packed_wrw_ndhwc_half_double_half, .Lfunc_end88-naive_conv_ab_packed_wrw_ndhwc_half_double_half
                                        ; -- End function
	.set naive_conv_ab_packed_wrw_ndhwc_half_double_half.num_vgpr, 30
	.set naive_conv_ab_packed_wrw_ndhwc_half_double_half.num_agpr, 0
	.set naive_conv_ab_packed_wrw_ndhwc_half_double_half.numbered_sgpr, 96
	.set naive_conv_ab_packed_wrw_ndhwc_half_double_half.num_named_barrier, 0
	.set naive_conv_ab_packed_wrw_ndhwc_half_double_half.private_seg_size, 0
	.set naive_conv_ab_packed_wrw_ndhwc_half_double_half.uses_vcc, 1
	.set naive_conv_ab_packed_wrw_ndhwc_half_double_half.uses_flat_scratch, 0
	.set naive_conv_ab_packed_wrw_ndhwc_half_double_half.has_dyn_sized_stack, 0
	.set naive_conv_ab_packed_wrw_ndhwc_half_double_half.has_recursion, 0
	.set naive_conv_ab_packed_wrw_ndhwc_half_double_half.has_indirect_call, 0
	.section	.AMDGPU.csdata,"",@progbits
; Kernel info:
; codeLenInByte = 2412
; TotalNumSgprs: 100
; NumVgprs: 30
; ScratchSize: 0
; MemoryBound: 0
; FloatMode: 240
; IeeeMode: 1
; LDSByteSize: 0 bytes/workgroup (compile time only)
; SGPRBlocks: 12
; VGPRBlocks: 7
; NumSGPRsForWavesPerEU: 100
; NumVGPRsForWavesPerEU: 30
; Occupancy: 8
; WaveLimiterHint : 0
; COMPUTE_PGM_RSRC2:SCRATCH_EN: 0
; COMPUTE_PGM_RSRC2:USER_SGPR: 6
; COMPUTE_PGM_RSRC2:TRAP_HANDLER: 0
; COMPUTE_PGM_RSRC2:TGID_X_EN: 1
; COMPUTE_PGM_RSRC2:TGID_Y_EN: 0
; COMPUTE_PGM_RSRC2:TGID_Z_EN: 0
; COMPUTE_PGM_RSRC2:TIDIG_COMP_CNT: 0
	.text
	.protected	naive_conv_ab_nonpacked_wrw_ndhwc_half_double_half ; -- Begin function naive_conv_ab_nonpacked_wrw_ndhwc_half_double_half
	.globl	naive_conv_ab_nonpacked_wrw_ndhwc_half_double_half
	.p2align	8
	.type	naive_conv_ab_nonpacked_wrw_ndhwc_half_double_half,@function
naive_conv_ab_nonpacked_wrw_ndhwc_half_double_half: ; @naive_conv_ab_nonpacked_wrw_ndhwc_half_double_half
; %bb.0:
	s_load_dwordx16 s[8:23], s[4:5], 0xb8
	s_load_dword s73, s[4:5], 0x108
	s_load_dwordx4 s[68:71], s[4:5], 0xf8
	s_waitcnt lgkmcnt(0)
	s_abs_i32 s0, s12
	v_cvt_f32_u32_e32 v1, s0
	s_mul_i32 s72, s73, s13
	s_mul_i32 s7, s72, s71
	s_mul_i32 s33, s7, s70
	v_rcp_iflag_f32_e32 v1, v1
	v_cmp_gt_i32_e32 vcc, s33, v0
	v_mul_f32_e32 v1, 0x4f7ffffe, v1
	v_cvt_u32_f32_e32 v1, v1
	v_readfirstlane_b32 s1, v1
	s_and_saveexec_b64 s[2:3], vcc
	s_cbranch_execz .LBB89_23
; %bb.1:
	s_sub_i32 s35, 0, s0
	s_mul_i32 s35, s35, s1
	s_mul_hi_u32 s35, s1, s35
	s_abs_i32 s34, s6
	s_add_i32 s1, s1, s35
	s_ashr_i32 s2, s6, 31
	s_ashr_i32 s3, s12, 31
	s_mul_hi_u32 s1, s34, s1
	s_xor_b32 s2, s2, s3
	s_mul_i32 s3, s1, s0
	s_sub_i32 s3, s34, s3
	s_add_i32 s34, s1, 1
	s_sub_i32 s35, s3, s0
	s_cmp_ge_u32 s3, s0
	s_cselect_b32 s1, s34, s1
	s_cselect_b32 s3, s35, s3
	s_add_i32 s34, s1, 1
	s_load_dwordx16 s[36:51], s[4:5], 0x28
	s_cmp_ge_u32 s3, s0
	s_cselect_b32 s0, s34, s1
	s_xor_b32 s0, s0, s2
	s_sub_i32 s34, s0, s2
	s_load_dwordx8 s[24:31], s[4:5], 0x0
	s_mul_i32 s0, s34, s12
	s_ashr_i32 s12, s34, 31
	s_sub_i32 s6, s6, s0
	s_waitcnt lgkmcnt(0)
	s_mul_i32 s0, s38, s12
	s_mul_hi_u32 s1, s38, s34
	s_add_i32 s0, s1, s0
	s_mul_i32 s1, s39, s34
	s_load_dwordx16 s[52:67], s[4:5], 0x68
	s_add_i32 s1, s0, s1
	s_mul_i32 s0, s38, s34
	s_lshl_b64 s[0:1], s[0:1], 1
	s_add_u32 s0, s24, s0
                                        ; implicit-def: $vgpr32 : SGPR spill to VGPR lane
	s_waitcnt lgkmcnt(0)
	s_mul_hi_u32 s2, s56, s6
	v_writelane_b32 v32, s0, 0
	s_addc_u32 s0, s25, s1
	v_writelane_b32 v32, s0, 1
	s_mul_i32 s0, s58, s12
	s_mul_hi_u32 s1, s58, s34
	s_ashr_i32 s24, s6, 31
	s_add_i32 s0, s1, s0
	s_mul_i32 s1, s56, s24
	s_add_i32 s2, s2, s1
	s_mul_i32 s1, s59, s34
	;; [unrolled: 2-line block ×3, first 2 shown]
	s_mul_i32 s3, s57, s6
	s_add_i32 s3, s2, s3
	s_lshl_b64 s[0:1], s[0:1], 1
	s_add_u32 s25, s26, s0
	s_mul_i32 s2, s56, s6
	s_addc_u32 s26, s27, s1
	s_lshl_b64 s[0:1], s[2:3], 1
	s_add_u32 s79, s25, s0
	s_load_dwordx2 s[2:3], s[4:5], 0x20
	s_addc_u32 s80, s26, s1
	s_mul_i32 s0, s62, s12
	s_mul_hi_u32 s1, s62, s34
	s_add_i32 s0, s1, s0
	s_mul_i32 s1, s63, s34
	s_mul_i32 s12, s60, s24
	s_mul_hi_u32 s24, s60, s6
	s_add_i32 s1, s0, s1
	s_mul_i32 s0, s62, s34
	s_add_i32 s12, s24, s12
	s_mul_i32 s24, s61, s6
	s_add_i32 s25, s12, s24
	s_lshl_b64 s[0:1], s[0:1], 1
	s_waitcnt lgkmcnt(0)
	s_add_u32 s2, s2, s0
	s_mul_i32 s24, s60, s6
	s_addc_u32 s3, s3, s1
	s_lshl_b64 s[0:1], s[24:25], 1
	s_add_u32 s24, s2, s0
	s_addc_u32 s25, s3, s1
	s_cmp_lt_i32 s11, 1
	s_cselect_b64 s[26:27], -1, 0
	s_cmp_gt_i32 s14, 0
	s_cselect_b64 s[34:35], -1, 0
	s_cmp_gt_i32 s15, 0
	;; [unrolled: 2-line block ×3, first 2 shown]
	s_cselect_b64 s[56:57], -1, 0
	s_abs_i32 s81, s13
	v_cvt_f32_u32_e32 v1, s81
	s_abs_i32 s82, s73
	v_cvt_f32_u32_e32 v2, s82
	;; [unrolled: 2-line block ×3, first 2 shown]
	s_abs_i32 s84, s71
	v_rcp_iflag_f32_e32 v1, v1
	v_cvt_f32_u32_e32 v6, s84
	s_abs_i32 s85, s7
	v_rcp_iflag_f32_e32 v2, v2
	v_cvt_f32_u32_e32 v7, s85
	s_load_dword s6, s[4:5], 0x11c
	s_load_dwordx4 s[0:3], s[4:5], 0xa8
	v_rcp_iflag_f32_e32 v3, v3
	v_mul_f32_e32 v1, 0x4f7ffffe, v1
	v_rcp_iflag_f32_e32 v6, v6
	v_cvt_u32_f32_e32 v1, v1
	v_mul_f32_e32 v2, 0x4f7ffffe, v2
	v_rcp_iflag_f32_e32 v7, v7
	v_cvt_u32_f32_e32 v2, v2
	v_mul_f32_e32 v3, 0x4f7ffffe, v3
	s_waitcnt lgkmcnt(0)
	s_lshl_b64 s[62:63], s[0:1], 1
	s_sub_i32 s0, 0, s81
	v_cvt_u32_f32_e32 v3, v3
	v_mul_f32_e32 v6, 0x4f7ffffe, v6
	v_mul_lo_u32 v4, s0, v1
	s_sub_i32 s0, 0, s82
	v_cvt_u32_f32_e32 v9, v6
	v_mul_f32_e32 v6, 0x4f7ffffe, v7
	v_mul_lo_u32 v5, s0, v2
	v_cvt_u32_f32_e32 v10, v6
	s_sub_i32 s0, 0, s83
	v_mul_lo_u32 v8, s0, v3
	s_sub_i32 s0, 0, s84
	v_mul_lo_u32 v11, s0, v9
	s_sub_i32 s0, 0, s85
	v_cmp_neq_f64_e64 s[58:59], s[28:29], 1.0
	v_cmp_neq_f64_e64 s[60:61], s[30:31], 0
	v_mul_hi_u32 v4, v1, v4
	v_mul_lo_u32 v12, s0, v10
	v_mul_hi_u32 v7, v2, v5
	s_and_b32 s86, s6, 0xffff
	v_add_u32_e32 v5, v1, v4
	v_mul_hi_u32 v1, v3, v8
	v_add_u32_e32 v7, v2, v7
	v_mul_hi_u32 v2, v9, v11
	v_mul_hi_u32 v4, v10, v12
	s_or_b64 s[58:59], s[58:59], s[60:61]
	s_lshl_b64 s[60:61], s[2:3], 1
	v_mov_b32_e32 v6, 0
	s_ashr_i32 s87, s72, 31
	v_add_u32_e32 v8, v3, v1
	v_add_u32_e32 v9, v9, v2
	s_ashr_i32 s88, s7, 31
	v_add_u32_e32 v10, v10, v4
	v_mov_b32_e32 v11, 0x7c00
	v_mov_b32_e32 v12, 0x7e00
	s_ashr_i32 s89, s13, 31
	s_sub_i32 s69, 0, s69
	s_movk_i32 s90, 0x1ff
	s_movk_i32 s91, 0xffe
	;; [unrolled: 1-line block ×3, first 2 shown]
	s_mov_b32 s93, 0x8000
	s_mov_b64 s[70:71], 0
	s_lshl_b64 s[66:67], s[66:67], 1
	s_lshl_b64 s[64:65], s[64:65], 1
	s_branch .LBB89_3
.LBB89_2:                               ;   in Loop: Header=BB89_3 Depth=1
	v_add_u32_e32 v0, s86, v0
	v_cmp_le_i32_e32 vcc, s33, v0
	s_or_b64 s[70:71], vcc, s[70:71]
	s_andn2_b64 exec, exec, s[70:71]
	s_cbranch_execz .LBB89_23
.LBB89_3:                               ; =>This Loop Header: Depth=1
                                        ;     Child Loop BB89_8 Depth 2
                                        ;       Child Loop BB89_11 Depth 3
                                        ;         Child Loop BB89_14 Depth 4
                                        ;           Child Loop BB89_17 Depth 5
	v_sub_u32_e32 v1, 0, v0
	v_max_i32_e32 v14, v0, v1
	v_mul_hi_u32 v2, v14, v5
	v_ashrrev_i32_e32 v1, 31, v0
	v_xor_b32_e32 v4, s89, v1
	s_mov_b64 s[72:73], -1
	v_mul_lo_u32 v3, v2, s81
	v_add_u32_e32 v13, 1, v2
	v_sub_u32_e32 v3, v14, v3
	v_cmp_le_u32_e32 vcc, s81, v3
	v_cndmask_b32_e32 v2, v2, v13, vcc
	v_subrev_u32_e32 v13, s81, v3
	v_cndmask_b32_e32 v3, v3, v13, vcc
	v_add_u32_e32 v13, 1, v2
	v_cmp_le_u32_e32 vcc, s81, v3
	v_cndmask_b32_e32 v2, v2, v13, vcc
	v_xor_b32_e32 v2, v2, v4
	v_sub_u32_e32 v2, v2, v4
	v_mul_hi_u32 v4, v14, v8
	v_sub_u32_e32 v3, 0, v2
	v_max_i32_e32 v15, v2, v3
	v_mul_hi_u32 v3, v15, v7
	v_mul_lo_u32 v13, v4, s83
	v_add_u32_e32 v18, 1, v4
	v_mul_lo_u32 v16, v2, s13
	v_mul_lo_u32 v17, v3, s82
	v_sub_u32_e32 v13, v14, v13
	v_cmp_le_u32_e32 vcc, s83, v13
	v_cndmask_b32_e32 v4, v4, v18, vcc
	v_subrev_u32_e32 v18, s83, v13
	v_cndmask_b32_e32 v13, v13, v18, vcc
	v_add_u32_e32 v18, 1, v4
	v_cmp_le_u32_e32 vcc, s83, v13
	v_xor_b32_e32 v3, s87, v1
	v_cndmask_b32_e32 v4, v4, v18, vcc
	v_xor_b32_e32 v4, v4, v3
	v_sub_u32_e32 v3, v4, v3
	v_sub_u32_e32 v4, 0, v3
	v_max_i32_e32 v18, v3, v4
	v_mul_hi_u32 v4, v18, v9
	v_sub_u32_e32 v15, v15, v17
	v_sub_u32_e32 v13, v0, v16
	v_subrev_u32_e32 v16, s82, v15
	v_cmp_le_u32_e32 vcc, s82, v15
	v_mul_lo_u32 v17, v4, s84
	v_cndmask_b32_e32 v4, v15, v16, vcc
	v_mul_hi_u32 v15, v14, v10
	v_cmp_le_u32_e64 s[0:1], s82, v4
	v_sub_u32_e32 v16, v18, v17
	v_subrev_u32_e32 v17, s84, v16
	v_mul_lo_u32 v18, v15, s85
	v_cmp_le_u32_e32 vcc, s84, v16
	v_cndmask_b32_e32 v16, v16, v17, vcc
	v_cmp_le_u32_e64 s[6:7], s84, v16
	v_sub_u32_e32 v14, v14, v18
	v_subrev_u32_e32 v17, s85, v14
	v_cmp_le_u32_e64 s[2:3], s85, v14
	v_cndmask_b32_e64 v14, v14, v17, s[2:3]
	v_cmp_le_u32_e64 s[4:5], s85, v14
	s_andn2_b64 vcc, exec, s[26:27]
                                        ; implicit-def: $vgpr14
	s_cbranch_vccnz .LBB89_5
; %bb.4:                                ;   in Loop: Header=BB89_3 Depth=1
	v_ashrrev_i32_e32 v14, 31, v13
	s_mov_b64 s[72:73], 0
.LBB89_5:                               ;   in Loop: Header=BB89_3 Depth=1
	v_subrev_u32_e32 v17, s82, v4
	v_ashrrev_i32_e32 v2, 31, v2
	v_cndmask_b32_e64 v4, v4, v17, s[0:1]
	v_xor_b32_e32 v4, v4, v2
	v_sub_u32_e32 v4, v4, v2
	v_ashrrev_i32_e32 v2, 31, v3
	v_subrev_u32_e32 v3, s84, v16
	v_cndmask_b32_e64 v3, v16, v3, s[6:7]
	v_xor_b32_e32 v16, s88, v1
	v_add_u32_e32 v1, 1, v15
	v_xor_b32_e32 v3, v3, v2
	v_cndmask_b32_e64 v1, v15, v1, s[2:3]
	v_sub_u32_e32 v3, v3, v2
	v_add_u32_e32 v2, 1, v1
	v_cndmask_b32_e64 v1, v1, v2, s[4:5]
	v_xor_b32_e32 v15, v1, v16
	v_mov_b32_e32 v1, 0
	v_mov_b32_e32 v2, 0
	s_andn2_b64 vcc, exec, s[72:73]
	v_sub_u32_e32 v15, v15, v16
	s_cbranch_vccnz .LBB89_19
; %bb.6:                                ;   in Loop: Header=BB89_3 Depth=1
	v_ashrrev_i32_e32 v14, 31, v13
	v_mul_lo_u32 v18, s37, v13
	v_mul_lo_u32 v19, s36, v14
	v_mad_u64_u32 v[1:2], s[0:1], s36, v13, 0
	v_mul_lo_u32 v20, v4, s22
	v_readlane_b32 s0, v32, 1
	v_add3_u32 v2, v2, v19, v18
	v_lshlrev_b64 v[1:2], 1, v[1:2]
	v_mul_lo_u32 v16, v15, s20
	v_mul_lo_u32 v17, v3, s21
	v_mov_b32_e32 v19, s0
	v_readlane_b32 s0, v32, 0
	v_add_co_u32_e32 v18, vcc, s0, v1
	v_addc_co_u32_e32 v19, vcc, v19, v2, vcc
	v_mov_b32_e32 v1, 0
	v_add_u32_e32 v20, s69, v20
	s_mov_b32 s94, 0
	v_mov_b32_e32 v2, 0
	s_mov_b64 s[2:3], s[24:25]
	s_branch .LBB89_8
.LBB89_7:                               ;   in Loop: Header=BB89_8 Depth=2
	s_add_i32 s94, s94, 1
	s_add_u32 s2, s2, s60
	s_addc_u32 s3, s3, s61
	s_cmp_eq_u32 s94, s11
	s_cbranch_scc1 .LBB89_19
.LBB89_8:                               ;   Parent Loop BB89_3 Depth=1
                                        ; =>  This Loop Header: Depth=2
                                        ;       Child Loop BB89_11 Depth 3
                                        ;         Child Loop BB89_14 Depth 4
                                        ;           Child Loop BB89_17 Depth 5
	s_andn2_b64 vcc, exec, s[34:35]
	s_cbranch_vccnz .LBB89_7
; %bb.9:                                ;   in Loop: Header=BB89_8 Depth=2
	s_mul_i32 s0, s47, s94
	s_mul_hi_u32 s1, s46, s94
	s_add_i32 s1, s1, s0
	s_mul_i32 s0, s46, s94
	s_lshl_b64 s[0:1], s[0:1], 1
	v_mov_b32_e32 v22, s1
	v_add_co_u32_e32 v21, vcc, s0, v18
	v_addc_co_u32_e32 v22, vcc, v19, v22, vcc
	s_mov_b32 s95, 0
	s_mov_b64 s[4:5], s[2:3]
	s_branch .LBB89_11
.LBB89_10:                              ;   in Loop: Header=BB89_11 Depth=3
	s_add_i32 s95, s95, 1
	s_add_u32 s4, s4, s62
	s_addc_u32 s5, s5, s63
	s_cmp_eq_u32 s95, s14
	s_cbranch_scc1 .LBB89_7
.LBB89_11:                              ;   Parent Loop BB89_3 Depth=1
                                        ;     Parent Loop BB89_8 Depth=2
                                        ; =>    This Loop Header: Depth=3
                                        ;         Child Loop BB89_14 Depth 4
                                        ;           Child Loop BB89_17 Depth 5
	s_andn2_b64 vcc, exec, s[38:39]
	s_cbranch_vccnz .LBB89_10
; %bb.12:                               ;   in Loop: Header=BB89_11 Depth=3
	s_mul_i32 s0, s95, s17
	s_sub_i32 s0, s0, s23
	v_add_u32_e32 v26, s0, v16
	v_mad_u64_u32 v[23:24], s[0:1], s44, v26, 0
	v_cmp_gt_i32_e32 vcc, 0, v26
	s_mov_b32 s12, 0
	v_mad_u64_u32 v[24:25], s[0:1], s45, v26, v[24:25]
	v_cmp_le_i32_e64 s[0:1], s8, v26
	s_or_b64 s[6:7], vcc, s[0:1]
	v_lshlrev_b64 v[23:24], 1, v[23:24]
	s_mov_b64 s[72:73], s[4:5]
	v_add_co_u32_e32 v23, vcc, v21, v23
	v_addc_co_u32_e32 v24, vcc, v22, v24, vcc
	s_branch .LBB89_14
.LBB89_13:                              ;   in Loop: Header=BB89_14 Depth=4
	s_add_i32 s12, s12, 1
	s_add_u32 s72, s72, s66
	s_addc_u32 s73, s73, s67
	s_cmp_eq_u32 s12, s15
	s_cbranch_scc1 .LBB89_10
.LBB89_14:                              ;   Parent Loop BB89_3 Depth=1
                                        ;     Parent Loop BB89_8 Depth=2
                                        ;       Parent Loop BB89_11 Depth=3
                                        ; =>      This Loop Header: Depth=4
                                        ;           Child Loop BB89_17 Depth 5
	s_andn2_b64 vcc, exec, s[56:57]
	s_cbranch_vccnz .LBB89_13
; %bb.15:                               ;   in Loop: Header=BB89_14 Depth=4
	s_mul_i32 s0, s12, s18
	s_sub_i32 s0, s0, s68
	v_add_u32_e32 v28, s0, v17
	v_mad_u64_u32 v[25:26], s[0:1], s42, v28, 0
	v_cmp_gt_i32_e32 vcc, 0, v28
	s_mov_b64 s[76:77], s[72:73]
	v_mad_u64_u32 v[26:27], s[0:1], s43, v28, v[26:27]
	v_cmp_le_i32_e64 s[0:1], s9, v28
	s_or_b64 s[0:1], vcc, s[0:1]
	v_lshlrev_b64 v[25:26], 1, v[25:26]
	s_or_b64 s[74:75], s[6:7], s[0:1]
	v_add_co_u32_e32 v25, vcc, v23, v25
	v_addc_co_u32_e32 v26, vcc, v24, v26, vcc
	v_mov_b32_e32 v27, v20
	s_mov_b32 s78, s16
	s_branch .LBB89_17
.LBB89_16:                              ;   in Loop: Header=BB89_17 Depth=5
	s_or_b64 exec, exec, s[0:1]
	s_add_i32 s78, s78, -1
	s_add_u32 s76, s76, s64
	s_addc_u32 s77, s77, s65
	s_cmp_eq_u32 s78, 0
	v_add_u32_e32 v27, s19, v27
	s_cbranch_scc1 .LBB89_13
.LBB89_17:                              ;   Parent Loop BB89_3 Depth=1
                                        ;     Parent Loop BB89_8 Depth=2
                                        ;       Parent Loop BB89_11 Depth=3
                                        ;         Parent Loop BB89_14 Depth=4
                                        ; =>        This Inner Loop Header: Depth=5
	v_cmp_gt_i32_e32 vcc, 0, v27
	v_cmp_le_i32_e64 s[0:1], s10, v27
	s_or_b64 s[0:1], vcc, s[0:1]
	s_nor_b64 vcc, s[74:75], s[0:1]
	s_and_saveexec_b64 s[0:1], vcc
	s_cbranch_execz .LBB89_16
; %bb.18:                               ;   in Loop: Header=BB89_17 Depth=5
	v_mad_u64_u32 v[28:29], vcc, s40, v27, 0
	v_mad_u64_u32 v[29:30], vcc, s41, v27, v[29:30]
	v_lshlrev_b64 v[28:29], 1, v[28:29]
	v_add_co_u32_e32 v28, vcc, v25, v28
	v_addc_co_u32_e32 v29, vcc, v26, v29, vcc
	global_load_ushort v28, v[28:29], off
	s_nop 0
	global_load_ushort v29, v6, s[76:77]
	s_waitcnt vmcnt(1)
	v_cvt_f32_f16_e32 v28, v28
	s_waitcnt vmcnt(0)
	v_cvt_f32_f16_e32 v30, v29
	v_cvt_f64_f32_e32 v[28:29], v28
	v_cvt_f64_f32_e32 v[30:31], v30
	v_fma_f64 v[1:2], v[28:29], v[30:31], v[1:2]
	s_branch .LBB89_16
.LBB89_19:                              ;   in Loop: Header=BB89_3 Depth=1
	v_ashrrev_i32_e32 v16, 31, v4
	v_mul_lo_u32 v18, s51, v4
	v_mul_lo_u32 v19, s50, v16
	v_mad_u64_u32 v[16:17], s[0:1], s50, v4, 0
	v_ashrrev_i32_e32 v4, 31, v3
	v_mul_lo_u32 v4, s52, v4
	v_add3_u32 v17, v17, v19, v18
	v_mad_u64_u32 v[16:17], s[0:1], s52, v3, v[16:17]
	v_mul_lo_u32 v3, s53, v3
	v_ashrrev_i32_e32 v18, 31, v15
	v_mul_lo_u32 v14, v14, s48
	s_and_b64 vcc, exec, s[58:59]
	v_add3_u32 v17, v3, v17, v4
	v_mad_u64_u32 v[3:4], s[0:1], s54, v15, v[16:17]
	v_mul_lo_u32 v15, s55, v15
	v_mul_lo_u32 v16, s54, v18
	v_add3_u32 v4, v15, v4, v16
	v_mad_u64_u32 v[3:4], s[0:1], v13, s48, v[3:4]
	v_mul_lo_u32 v13, v13, s49
	s_mov_b64 s[0:1], -1
	v_add3_u32 v4, v14, v4, v13
	s_cbranch_vccz .LBB89_21
; %bb.20:                               ;   in Loop: Header=BB89_3 Depth=1
	v_lshlrev_b64 v[13:14], 1, v[3:4]
	v_mov_b32_e32 v15, s80
	v_add_co_u32_e32 v13, vcc, s79, v13
	v_addc_co_u32_e32 v14, vcc, v15, v14, vcc
	global_load_ushort v15, v[13:14], off
	s_mov_b64 s[0:1], 0
	s_waitcnt vmcnt(0)
	v_cvt_f32_f16_e32 v15, v15
	v_cvt_f64_f32_e32 v[15:16], v15
	v_mul_f64 v[15:16], s[30:31], v[15:16]
	v_fma_f64 v[15:16], s[28:29], v[1:2], v[15:16]
	v_and_or_b32 v15, v16, s90, v15
	v_cmp_ne_u32_e32 vcc, 0, v15
	v_lshrrev_b32_e32 v17, 8, v16
	v_bfe_u32 v18, v16, 20, 11
	v_cndmask_b32_e64 v15, 0, 1, vcc
	v_sub_u32_e32 v19, 0x3f1, v18
	v_and_or_b32 v15, v17, s91, v15
	v_med3_i32 v17, v19, 0, 13
	v_or_b32_e32 v19, 0x1000, v15
	v_lshrrev_b32_e32 v21, v17, v19
	v_add_u32_e32 v18, 0xfffffc10, v18
	v_cmp_ne_u32_e32 vcc, 0, v15
	v_lshlrev_b32_e32 v17, v17, v21
	v_lshl_or_b32 v20, v18, 12, v15
	v_cndmask_b32_e32 v15, v11, v12, vcc
	v_cmp_ne_u32_e32 vcc, v17, v19
	v_cndmask_b32_e64 v17, 0, 1, vcc
	v_or_b32_e32 v17, v21, v17
	v_cmp_gt_i32_e32 vcc, 1, v18
	v_cndmask_b32_e32 v17, v20, v17, vcc
	v_and_b32_e32 v19, 7, v17
	v_cmp_lt_i32_e32 vcc, 5, v19
	v_cndmask_b32_e64 v20, 0, 1, vcc
	v_cmp_eq_u32_e32 vcc, 3, v19
	v_cndmask_b32_e64 v19, 0, 1, vcc
	v_lshrrev_b32_e32 v17, 2, v17
	v_or_b32_e32 v19, v19, v20
	v_add_u32_e32 v17, v17, v19
	v_cmp_gt_i32_e32 vcc, 31, v18
	v_cndmask_b32_e32 v17, v11, v17, vcc
	v_cmp_eq_u32_e32 vcc, s92, v18
	v_lshrrev_b32_e32 v16, 16, v16
	v_cndmask_b32_e32 v15, v17, v15, vcc
	v_and_or_b32 v15, v16, s93, v15
	global_store_short v[13:14], v15, off
.LBB89_21:                              ;   in Loop: Header=BB89_3 Depth=1
	s_andn2_b64 vcc, exec, s[0:1]
	s_cbranch_vccnz .LBB89_2
; %bb.22:                               ;   in Loop: Header=BB89_3 Depth=1
	v_and_or_b32 v1, v2, s90, v1
	v_cmp_ne_u32_e32 vcc, 0, v1
	v_cndmask_b32_e64 v1, 0, 1, vcc
	v_lshrrev_b32_e32 v13, 8, v2
	v_bfe_u32 v14, v2, 20, 11
	v_and_or_b32 v1, v13, s91, v1
	v_sub_u32_e32 v15, 0x3f1, v14
	v_or_b32_e32 v13, 0x1000, v1
	v_med3_i32 v15, v15, 0, 13
	v_lshrrev_b32_e32 v16, v15, v13
	v_lshlrev_b32_e32 v15, v15, v16
	v_cmp_ne_u32_e32 vcc, v15, v13
	v_cndmask_b32_e64 v13, 0, 1, vcc
	v_add_u32_e32 v14, 0xfffffc10, v14
	v_or_b32_e32 v13, v16, v13
	v_lshl_or_b32 v15, v14, 12, v1
	v_cmp_gt_i32_e32 vcc, 1, v14
	v_cndmask_b32_e32 v13, v15, v13, vcc
	v_and_b32_e32 v15, 7, v13
	v_cmp_lt_i32_e32 vcc, 5, v15
	v_cndmask_b32_e64 v16, 0, 1, vcc
	v_cmp_eq_u32_e32 vcc, 3, v15
	v_cndmask_b32_e64 v15, 0, 1, vcc
	v_or_b32_e32 v15, v15, v16
	v_lshrrev_b32_e32 v13, 2, v13
	v_add_u32_e32 v13, v13, v15
	v_cmp_gt_i32_e32 vcc, 31, v14
	v_cndmask_b32_e32 v13, v11, v13, vcc
	v_cmp_ne_u32_e32 vcc, 0, v1
	v_cndmask_b32_e32 v1, v11, v12, vcc
	v_cmp_eq_u32_e32 vcc, s92, v14
	v_cndmask_b32_e32 v1, v13, v1, vcc
	v_lshrrev_b32_e32 v2, 16, v2
	v_and_or_b32 v13, v2, s93, v1
	v_lshlrev_b64 v[1:2], 1, v[3:4]
	v_mov_b32_e32 v3, s80
	v_add_co_u32_e32 v1, vcc, s79, v1
	v_addc_co_u32_e32 v2, vcc, v3, v2, vcc
	global_store_short v[1:2], v13, off
	s_branch .LBB89_2
.LBB89_23:
	s_endpgm
	.section	.rodata,"a",@progbits
	.p2align	6, 0x0
	.amdhsa_kernel naive_conv_ab_nonpacked_wrw_ndhwc_half_double_half
		.amdhsa_group_segment_fixed_size 0
		.amdhsa_private_segment_fixed_size 0
		.amdhsa_kernarg_size 528
		.amdhsa_user_sgpr_count 6
		.amdhsa_user_sgpr_private_segment_buffer 1
		.amdhsa_user_sgpr_dispatch_ptr 0
		.amdhsa_user_sgpr_queue_ptr 0
		.amdhsa_user_sgpr_kernarg_segment_ptr 1
		.amdhsa_user_sgpr_dispatch_id 0
		.amdhsa_user_sgpr_flat_scratch_init 0
		.amdhsa_user_sgpr_private_segment_size 0
		.amdhsa_uses_dynamic_stack 0
		.amdhsa_system_sgpr_private_segment_wavefront_offset 0
		.amdhsa_system_sgpr_workgroup_id_x 1
		.amdhsa_system_sgpr_workgroup_id_y 0
		.amdhsa_system_sgpr_workgroup_id_z 0
		.amdhsa_system_sgpr_workgroup_info 0
		.amdhsa_system_vgpr_workitem_id 0
		.amdhsa_next_free_vgpr 33
		.amdhsa_next_free_sgpr 96
		.amdhsa_reserve_vcc 1
		.amdhsa_reserve_flat_scratch 0
		.amdhsa_float_round_mode_32 0
		.amdhsa_float_round_mode_16_64 0
		.amdhsa_float_denorm_mode_32 3
		.amdhsa_float_denorm_mode_16_64 3
		.amdhsa_dx10_clamp 1
		.amdhsa_ieee_mode 1
		.amdhsa_fp16_overflow 0
		.amdhsa_exception_fp_ieee_invalid_op 0
		.amdhsa_exception_fp_denorm_src 0
		.amdhsa_exception_fp_ieee_div_zero 0
		.amdhsa_exception_fp_ieee_overflow 0
		.amdhsa_exception_fp_ieee_underflow 0
		.amdhsa_exception_fp_ieee_inexact 0
		.amdhsa_exception_int_div_zero 0
	.end_amdhsa_kernel
	.text
.Lfunc_end89:
	.size	naive_conv_ab_nonpacked_wrw_ndhwc_half_double_half, .Lfunc_end89-naive_conv_ab_nonpacked_wrw_ndhwc_half_double_half
                                        ; -- End function
	.set naive_conv_ab_nonpacked_wrw_ndhwc_half_double_half.num_vgpr, 33
	.set naive_conv_ab_nonpacked_wrw_ndhwc_half_double_half.num_agpr, 0
	.set naive_conv_ab_nonpacked_wrw_ndhwc_half_double_half.numbered_sgpr, 96
	.set naive_conv_ab_nonpacked_wrw_ndhwc_half_double_half.num_named_barrier, 0
	.set naive_conv_ab_nonpacked_wrw_ndhwc_half_double_half.private_seg_size, 0
	.set naive_conv_ab_nonpacked_wrw_ndhwc_half_double_half.uses_vcc, 1
	.set naive_conv_ab_nonpacked_wrw_ndhwc_half_double_half.uses_flat_scratch, 0
	.set naive_conv_ab_nonpacked_wrw_ndhwc_half_double_half.has_dyn_sized_stack, 0
	.set naive_conv_ab_nonpacked_wrw_ndhwc_half_double_half.has_recursion, 0
	.set naive_conv_ab_nonpacked_wrw_ndhwc_half_double_half.has_indirect_call, 0
	.section	.AMDGPU.csdata,"",@progbits
; Kernel info:
; codeLenInByte = 2440
; TotalNumSgprs: 100
; NumVgprs: 33
; ScratchSize: 0
; MemoryBound: 0
; FloatMode: 240
; IeeeMode: 1
; LDSByteSize: 0 bytes/workgroup (compile time only)
; SGPRBlocks: 12
; VGPRBlocks: 8
; NumSGPRsForWavesPerEU: 100
; NumVGPRsForWavesPerEU: 33
; Occupancy: 7
; WaveLimiterHint : 0
; COMPUTE_PGM_RSRC2:SCRATCH_EN: 0
; COMPUTE_PGM_RSRC2:USER_SGPR: 6
; COMPUTE_PGM_RSRC2:TRAP_HANDLER: 0
; COMPUTE_PGM_RSRC2:TGID_X_EN: 1
; COMPUTE_PGM_RSRC2:TGID_Y_EN: 0
; COMPUTE_PGM_RSRC2:TGID_Z_EN: 0
; COMPUTE_PGM_RSRC2:TIDIG_COMP_CNT: 0
	.text
	.protected	naive_conv_ab_packed_wrw_ndhwc_ushort_double_ushort ; -- Begin function naive_conv_ab_packed_wrw_ndhwc_ushort_double_ushort
	.globl	naive_conv_ab_packed_wrw_ndhwc_ushort_double_ushort
	.p2align	8
	.type	naive_conv_ab_packed_wrw_ndhwc_ushort_double_ushort,@function
naive_conv_ab_packed_wrw_ndhwc_ushort_double_ushort: ; @naive_conv_ab_packed_wrw_ndhwc_ushort_double_ushort
; %bb.0:
	s_load_dwordx16 s[8:23], s[4:5], 0xb8
	s_load_dwordx2 s[0:1], s[4:5], 0x108
	s_load_dwordx4 s[36:39], s[4:5], 0xf8
	s_waitcnt lgkmcnt(0)
	s_abs_i32 s34, s12
	v_cvt_f32_u32_e32 v1, s34
	s_mul_i32 s46, s0, s13
	s_mul_i32 s7, s46, s39
	s_mul_i32 s33, s7, s38
	v_rcp_iflag_f32_e32 v1, v1
	v_cmp_gt_i32_e32 vcc, s33, v0
	v_mul_f32_e32 v1, 0x4f7ffffe, v1
	v_cvt_u32_f32_e32 v1, v1
	v_readfirstlane_b32 s35, v1
	s_and_saveexec_b64 s[2:3], vcc
	s_cbranch_execz .LBB90_23
; %bb.1:
	s_sub_i32 s43, 0, s34
	s_mul_i32 s43, s43, s35
	s_mul_hi_u32 s43, s35, s43
	s_abs_i32 s42, s6
	s_add_i32 s35, s35, s43
	s_ashr_i32 s40, s6, 31
	s_ashr_i32 s41, s12, 31
	s_mul_hi_u32 s35, s42, s35
	s_xor_b32 s40, s40, s41
	s_mul_i32 s41, s35, s34
	s_sub_i32 s41, s42, s41
	s_add_i32 s42, s35, 1
	s_sub_i32 s43, s41, s34
	s_cmp_ge_u32 s41, s34
	s_cselect_b32 s35, s42, s35
	s_cselect_b32 s41, s43, s41
	s_add_i32 s42, s35, 1
	s_cmp_ge_u32 s41, s34
	s_cselect_b32 s34, s42, s35
	s_load_dwordx8 s[24:31], s[4:5], 0x0
	s_load_dwordx2 s[2:3], s[4:5], 0x20
	s_xor_b32 s34, s34, s40
	s_sub_i32 s35, s34, s40
	s_mul_i32 s34, s35, s12
	s_mul_hi_i32 s43, s35, s13
	s_mul_i32 s42, s35, s13
	s_sub_i32 s40, s6, s34
	s_ashr_i32 s58, s13, 31
	s_lshl_b64 s[42:43], s[42:43], 1
	s_waitcnt lgkmcnt(0)
	s_add_u32 s59, s24, s42
	s_addc_u32 s60, s25, s43
	s_ashr_i32 s6, s39, 31
	s_ashr_i32 s61, s0, 31
	;; [unrolled: 1-line block ×3, first 2 shown]
	s_mul_hi_i32 s42, s38, s13
	s_mul_i32 s38, s38, s13
	s_mul_hi_i32 s35, s35, s12
	s_add_u32 s24, s34, s40
	s_mul_i32 s6, s38, s6
	s_mul_hi_u32 s43, s38, s39
	s_addc_u32 s25, s35, s41
	s_add_i32 s6, s43, s6
	s_mul_i32 s42, s42, s39
	s_mul_i32 s38, s38, s39
	s_add_i32 s6, s6, s42
	s_mul_i32 s42, s38, s61
	s_mul_hi_u32 s43, s38, s0
	s_add_i32 s42, s43, s42
	s_mul_i32 s6, s6, s0
	s_mul_i32 s38, s38, s0
	s_add_i32 s6, s42, s6
	s_mul_i32 s25, s38, s25
	s_mul_hi_u32 s42, s38, s24
	s_add_i32 s25, s42, s25
	s_mul_i32 s6, s6, s24
	s_add_i32 s25, s25, s6
	s_mul_i32 s24, s38, s24
	s_lshl_b64 s[24:25], s[24:25], 1
	s_add_u32 s63, s26, s24
	s_addc_u32 s64, s27, s25
	s_lshl_b64 s[24:25], s[34:35], 1
	s_load_dword s6, s[4:5], 0x11c
	s_add_u32 s4, s2, s24
	s_addc_u32 s5, s3, s25
	s_lshl_b64 s[2:3], s[40:41], 1
	s_add_u32 s24, s4, s2
	s_addc_u32 s25, s5, s3
	s_cmp_lt_i32 s11, 1
	s_cselect_b64 s[26:27], -1, 0
	s_cmp_gt_i32 s14, 0
	s_cselect_b64 s[34:35], -1, 0
	s_cmp_gt_i32 s15, 0
	;; [unrolled: 2-line block ×3, first 2 shown]
	s_cselect_b64 s[42:43], -1, 0
	s_abs_i32 s66, s13
	v_cvt_f32_u32_e32 v1, s66
	s_abs_i32 s67, s0
	v_cvt_f32_u32_e32 v2, s67
	s_mov_b32 s62, s0
	v_rcp_iflag_f32_e32 v1, v1
	s_sub_i32 s0, 0, s66
	v_rcp_iflag_f32_e32 v2, v2
	s_abs_i32 s68, s46
	v_mul_f32_e32 v1, 0x4f7ffffe, v1
	v_cvt_u32_f32_e32 v1, v1
	v_mul_f32_e32 v2, 0x4f7ffffe, v2
	v_cvt_u32_f32_e32 v2, v2
	v_cvt_f32_u32_e32 v5, s68
	v_mul_lo_u32 v3, s0, v1
	s_sub_i32 s0, 0, s67
	v_mul_lo_u32 v4, s0, v2
	s_abs_i32 s70, s39
	v_mul_hi_u32 v3, v1, v3
	s_abs_i32 s71, s7
	v_mul_hi_u32 v4, v2, v4
	v_rcp_iflag_f32_e32 v5, v5
	v_add_u32_e32 v11, v1, v3
	v_cvt_f32_u32_e32 v3, s71
	v_add_u32_e32 v13, v2, v4
	v_cvt_f32_u32_e32 v2, s70
	v_mul_f32_e32 v1, 0x4f7ffffe, v5
	v_rcp_iflag_f32_e32 v3, v3
	v_cmp_neq_f64_e64 s[4:5], s[28:29], 1.0
	v_rcp_iflag_f32_e32 v2, v2
	v_cmp_neq_f64_e64 s[44:45], s[30:31], 0
	v_cvt_u32_f32_e32 v1, v1
	v_mul_f32_e32 v3, 0x4f7ffffe, v3
	v_mul_f32_e32 v2, 0x4f7ffffe, v2
	v_cvt_u32_f32_e32 v2, v2
	v_cvt_u32_f32_e32 v3, v3
	s_sub_i32 s0, 0, s68
	v_mul_lo_u32 v4, s0, v1
	s_sub_i32 s0, 0, s70
	v_mul_lo_u32 v5, s0, v2
	s_sub_i32 s0, 0, s71
	s_mul_i32 s2, s1, s12
	v_mul_lo_u32 v6, s0, v3
	s_ashr_i32 s3, s2, 31
	s_mul_i32 s0, s16, s15
	s_mul_i32 s65, s1, s13
	s_or_b64 s[44:45], s[4:5], s[44:45]
	s_mul_hi_u32 s1, s0, s2
	s_mul_i32 s4, s0, s3
	s_add_i32 s1, s1, s4
	s_mul_hi_i32 s4, s16, s15
	s_ashr_i32 s12, s14, 31
	v_mul_hi_u32 v4, v1, v4
	v_mul_hi_u32 v5, v2, v5
	;; [unrolled: 1-line block ×3, first 2 shown]
	s_mul_i32 s4, s4, s2
	s_mul_i32 s0, s0, s2
	s_add_i32 s1, s1, s4
	s_mul_hi_u32 s4, s0, s14
	s_mul_i32 s5, s0, s12
	s_add_i32 s4, s4, s5
	s_mul_i32 s5, s1, s14
	s_add_i32 s5, s4, s5
	s_mul_i32 s4, s0, s14
	s_lshl_b64 s[48:49], s[0:1], 1
	s_mul_hi_i32 s1, s16, s2
	s_mul_i32 s0, s16, s2
	s_waitcnt lgkmcnt(0)
	s_and_b32 s69, s6, 0xffff
	v_mov_b32_e32 v12, 0
	s_ashr_i32 s72, s46, 31
	v_add_u32_e32 v14, v1, v4
	v_add_u32_e32 v15, v2, v5
	s_ashr_i32 s73, s7, 31
	v_add_u32_e32 v16, v3, v6
	s_lshl_b64 s[46:47], s[4:5], 1
	s_lshl_b64 s[50:51], s[0:1], 1
	;; [unrolled: 1-line block ×3, first 2 shown]
	s_mov_b32 s74, s13
	s_mov_b32 s75, s39
	s_ashr_i32 s76, s8, 31
	s_mov_b32 s77, s8
	s_ashr_i32 s78, s9, 31
	s_mov_b32 s79, s9
	s_ashr_i32 s80, s10, 31
	s_mov_b32 s81, s10
	s_ashr_i32 s82, s65, 31
	s_sub_i32 s37, 0, s37
	s_mov_b32 s83, 0x7f800000
	s_mov_b64 s[12:13], 0
	s_branch .LBB90_3
.LBB90_2:                               ;   in Loop: Header=BB90_3 Depth=1
	v_add_u32_e32 v0, s69, v0
	v_cmp_le_i32_e32 vcc, s33, v0
	s_or_b64 s[12:13], vcc, s[12:13]
	s_andn2_b64 exec, exec, s[12:13]
	s_cbranch_execz .LBB90_23
.LBB90_3:                               ; =>This Loop Header: Depth=1
                                        ;     Child Loop BB90_8 Depth 2
                                        ;       Child Loop BB90_11 Depth 3
                                        ;         Child Loop BB90_14 Depth 4
                                        ;           Child Loop BB90_17 Depth 5
	v_sub_u32_e32 v1, 0, v0
	v_max_i32_e32 v2, v0, v1
	v_mul_hi_u32 v1, v2, v11
	v_ashrrev_i32_e32 v3, 31, v0
	v_xor_b32_e32 v5, s58, v3
	s_mov_b64 s[38:39], -1
	v_mul_lo_u32 v4, v1, s66
	v_add_u32_e32 v6, 1, v1
	v_sub_u32_e32 v4, v2, v4
	v_cmp_le_u32_e32 vcc, s66, v4
	v_cndmask_b32_e32 v1, v1, v6, vcc
	v_subrev_u32_e32 v6, s66, v4
	v_cndmask_b32_e32 v4, v4, v6, vcc
	v_add_u32_e32 v6, 1, v1
	v_cmp_le_u32_e32 vcc, s66, v4
	v_cndmask_b32_e32 v1, v1, v6, vcc
	v_xor_b32_e32 v1, v1, v5
	v_sub_u32_e32 v4, v1, v5
	v_mul_hi_u32 v5, v2, v14
	v_sub_u32_e32 v1, 0, v4
	v_max_i32_e32 v7, v4, v1
	v_mul_hi_u32 v1, v7, v13
	v_mul_lo_u32 v6, v5, s68
	v_add_u32_e32 v10, 1, v5
	v_mul_lo_u32 v8, v4, s74
	v_mul_lo_u32 v9, v1, s67
	v_sub_u32_e32 v6, v2, v6
	v_cmp_le_u32_e32 vcc, s68, v6
	v_cndmask_b32_e32 v5, v5, v10, vcc
	v_subrev_u32_e32 v10, s68, v6
	v_cndmask_b32_e32 v6, v6, v10, vcc
	v_add_u32_e32 v10, 1, v5
	v_cmp_le_u32_e32 vcc, s68, v6
	v_xor_b32_e32 v1, s72, v3
	v_cndmask_b32_e32 v5, v5, v10, vcc
	v_xor_b32_e32 v5, v5, v1
	v_sub_u32_e32 v6, v5, v1
	v_sub_u32_e32 v1, 0, v6
	v_max_i32_e32 v10, v6, v1
	v_mul_hi_u32 v5, v10, v15
	v_sub_u32_e32 v7, v7, v9
	v_sub_u32_e32 v1, v0, v8
	v_subrev_u32_e32 v8, s67, v7
	v_cmp_le_u32_e32 vcc, s67, v7
	v_mul_lo_u32 v9, v5, s70
	v_cndmask_b32_e32 v5, v7, v8, vcc
	v_mul_hi_u32 v7, v2, v16
	v_cmp_le_u32_e64 s[0:1], s67, v5
	v_sub_u32_e32 v8, v10, v9
	v_subrev_u32_e32 v9, s70, v8
	v_mul_lo_u32 v10, v7, s71
	v_cmp_le_u32_e32 vcc, s70, v8
	v_cndmask_b32_e32 v8, v8, v9, vcc
	v_cmp_le_u32_e64 s[6:7], s70, v8
	v_sub_u32_e32 v2, v2, v10
	v_subrev_u32_e32 v9, s71, v2
	v_cmp_le_u32_e64 s[2:3], s71, v2
	v_cndmask_b32_e64 v2, v2, v9, s[2:3]
	v_cmp_le_u32_e64 s[4:5], s71, v2
	s_andn2_b64 vcc, exec, s[26:27]
	s_cbranch_vccnz .LBB90_5
; %bb.4:                                ;   in Loop: Header=BB90_3 Depth=1
	v_ashrrev_i32_e32 v2, 31, v1
	s_mov_b64 s[38:39], 0
.LBB90_5:                               ;   in Loop: Header=BB90_3 Depth=1
	v_subrev_u32_e32 v9, s67, v5
	v_ashrrev_i32_e32 v4, 31, v4
	v_cndmask_b32_e64 v5, v5, v9, s[0:1]
	v_xor_b32_e32 v5, v5, v4
	v_sub_u32_e32 v5, v5, v4
	v_ashrrev_i32_e32 v4, 31, v6
	v_subrev_u32_e32 v6, s70, v8
	v_cndmask_b32_e64 v6, v8, v6, s[6:7]
	v_xor_b32_e32 v8, s73, v3
	v_add_u32_e32 v3, 1, v7
	v_xor_b32_e32 v6, v6, v4
	v_cndmask_b32_e64 v3, v7, v3, s[2:3]
	v_sub_u32_e32 v6, v6, v4
	v_add_u32_e32 v4, 1, v3
	v_cndmask_b32_e64 v3, v3, v4, s[4:5]
	v_xor_b32_e32 v7, v3, v8
	v_mov_b32_e32 v3, 0
	v_mov_b32_e32 v4, 0
	s_andn2_b64 vcc, exec, s[38:39]
	v_sub_u32_e32 v17, v7, v8
	s_cbranch_vccnz .LBB90_19
; %bb.6:                                ;   in Loop: Header=BB90_3 Depth=1
	v_ashrrev_i32_e32 v2, 31, v1
	v_mul_lo_u32 v7, v5, s22
	v_lshlrev_b64 v[3:4], 1, v[1:2]
	v_mul_lo_u32 v18, v17, s20
	v_mul_lo_u32 v19, v6, s21
	v_mov_b32_e32 v8, s60
	v_add_co_u32_e32 v20, vcc, s59, v3
	v_addc_co_u32_e32 v21, vcc, v8, v4, vcc
	v_mov_b32_e32 v3, 0
	v_add_u32_e32 v22, s37, v7
	s_mov_b32 s84, 0
	v_mov_b32_e32 v4, 0
	s_mov_b64 s[2:3], s[24:25]
	s_branch .LBB90_8
.LBB90_7:                               ;   in Loop: Header=BB90_8 Depth=2
	s_add_i32 s84, s84, 1
	s_add_u32 s2, s2, s46
	s_addc_u32 s3, s3, s47
	s_cmp_eq_u32 s84, s11
	s_cbranch_scc1 .LBB90_19
.LBB90_8:                               ;   Parent Loop BB90_3 Depth=1
                                        ; =>  This Loop Header: Depth=2
                                        ;       Child Loop BB90_11 Depth 3
                                        ;         Child Loop BB90_14 Depth 4
                                        ;           Child Loop BB90_17 Depth 5
	s_andn2_b64 vcc, exec, s[34:35]
	s_cbranch_vccnz .LBB90_7
; %bb.9:                                ;   in Loop: Header=BB90_8 Depth=2
	s_mul_i32 s0, s84, s76
	s_mul_hi_u32 s1, s84, s77
	s_add_i32 s85, s1, s0
	s_mul_i32 s86, s84, s77
	s_mov_b32 s87, 0
	s_mov_b64 s[4:5], s[2:3]
	s_branch .LBB90_11
.LBB90_10:                              ;   in Loop: Header=BB90_11 Depth=3
	s_add_i32 s87, s87, 1
	s_add_u32 s4, s4, s48
	s_addc_u32 s5, s5, s49
	s_cmp_eq_u32 s87, s14
	s_cbranch_scc1 .LBB90_7
.LBB90_11:                              ;   Parent Loop BB90_3 Depth=1
                                        ;     Parent Loop BB90_8 Depth=2
                                        ; =>    This Loop Header: Depth=3
                                        ;         Child Loop BB90_14 Depth 4
                                        ;           Child Loop BB90_17 Depth 5
	s_andn2_b64 vcc, exec, s[40:41]
	s_cbranch_vccnz .LBB90_10
; %bb.12:                               ;   in Loop: Header=BB90_11 Depth=3
	s_mul_i32 s0, s87, s17
	s_sub_i32 s0, s0, s23
	v_add_u32_e32 v9, s0, v18
	v_mov_b32_e32 v7, s85
	v_add_co_u32_e32 v8, vcc, s86, v9
	v_addc_co_u32_e32 v7, vcc, 0, v7, vcc
	v_mul_lo_u32 v10, v7, s79
	v_mul_lo_u32 v23, v8, s78
	v_mad_u64_u32 v[7:8], s[0:1], v8, s79, 0
	v_cmp_gt_i32_e32 vcc, 0, v9
	v_cmp_le_i32_e64 s[0:1], s8, v9
	s_mov_b32 s88, 0
	s_or_b64 s[6:7], vcc, s[0:1]
	v_add3_u32 v8, v8, v23, v10
	s_mov_b64 s[38:39], s[4:5]
	s_branch .LBB90_14
.LBB90_13:                              ;   in Loop: Header=BB90_14 Depth=4
	s_add_i32 s88, s88, 1
	s_add_u32 s38, s38, s50
	s_addc_u32 s39, s39, s51
	s_cmp_eq_u32 s88, s15
	s_cbranch_scc1 .LBB90_10
.LBB90_14:                              ;   Parent Loop BB90_3 Depth=1
                                        ;     Parent Loop BB90_8 Depth=2
                                        ;       Parent Loop BB90_11 Depth=3
                                        ; =>      This Loop Header: Depth=4
                                        ;           Child Loop BB90_17 Depth 5
	s_andn2_b64 vcc, exec, s[42:43]
	s_cbranch_vccnz .LBB90_13
; %bb.15:                               ;   in Loop: Header=BB90_14 Depth=4
	s_mul_i32 s0, s88, s18
	s_sub_i32 s0, s0, s36
	v_add_u32_e32 v23, s0, v19
	v_add_co_u32_e64 v9, s[0:1], v7, v23
	v_addc_co_u32_e64 v10, s[0:1], 0, v8, s[0:1]
	v_mul_lo_u32 v24, v10, s81
	v_mul_lo_u32 v25, v9, s80
	v_mad_u64_u32 v[9:10], s[0:1], v9, s81, 0
	v_cmp_gt_i32_e32 vcc, 0, v23
	v_cmp_le_i32_e64 s[0:1], s9, v23
	s_or_b64 s[0:1], vcc, s[0:1]
	s_or_b64 s[54:55], s[6:7], s[0:1]
	v_add3_u32 v10, v10, v25, v24
	v_mov_b32_e32 v23, v22
	s_mov_b64 s[56:57], s[38:39]
	s_mov_b32 s89, s16
	s_branch .LBB90_17
.LBB90_16:                              ;   in Loop: Header=BB90_17 Depth=5
	s_or_b64 exec, exec, s[0:1]
	s_add_i32 s89, s89, -1
	s_add_u32 s56, s56, s52
	s_addc_u32 s57, s57, s53
	s_cmp_eq_u32 s89, 0
	v_add_u32_e32 v23, s19, v23
	s_cbranch_scc1 .LBB90_13
.LBB90_17:                              ;   Parent Loop BB90_3 Depth=1
                                        ;     Parent Loop BB90_8 Depth=2
                                        ;       Parent Loop BB90_11 Depth=3
                                        ;         Parent Loop BB90_14 Depth=4
                                        ; =>        This Inner Loop Header: Depth=5
	v_cmp_gt_i32_e32 vcc, 0, v23
	v_cmp_le_i32_e64 s[0:1], s10, v23
	s_or_b64 s[0:1], vcc, s[0:1]
	s_nor_b64 s[90:91], s[54:55], s[0:1]
	s_and_saveexec_b64 s[0:1], s[90:91]
	s_cbranch_execz .LBB90_16
; %bb.18:                               ;   in Loop: Header=BB90_17 Depth=5
	v_add_co_u32_e32 v24, vcc, v9, v23
	v_addc_co_u32_e32 v25, vcc, 0, v10, vcc
	v_mul_lo_u32 v26, v25, s65
	v_mul_lo_u32 v27, v24, s82
	v_mad_u64_u32 v[24:25], s[90:91], v24, s65, 0
	v_add3_u32 v25, v25, v27, v26
	v_lshlrev_b64 v[24:25], 1, v[24:25]
	v_add_co_u32_e32 v24, vcc, v20, v24
	v_addc_co_u32_e32 v25, vcc, v21, v25, vcc
	global_load_ushort v26, v12, s[56:57]
	s_nop 0
	global_load_ushort v24, v[24:25], off
	s_waitcnt vmcnt(1)
	v_lshlrev_b32_e32 v26, 16, v26
	s_waitcnt vmcnt(0)
	v_lshlrev_b32_e32 v24, 16, v24
	v_cvt_f64_f32_e32 v[24:25], v24
	v_cvt_f64_f32_e32 v[26:27], v26
	v_fma_f64 v[3:4], v[24:25], v[26:27], v[3:4]
	s_branch .LBB90_16
.LBB90_19:                              ;   in Loop: Header=BB90_3 Depth=1
	v_ashrrev_i32_e32 v7, 31, v6
	v_mad_i64_i32 v[7:8], s[0:1], v17, s75, v[6:7]
	v_ashrrev_i32_e32 v6, 31, v5
	s_and_b64 vcc, exec, s[44:45]
	v_mad_u64_u32 v[5:6], s[0:1], v7, s62, v[5:6]
	v_mul_lo_u32 v7, v7, s61
	v_mul_lo_u32 v8, v8, s62
	v_mad_u64_u32 v[1:2], s[0:1], v5, s74, v[1:2]
	s_mov_b64 s[0:1], -1
	v_add3_u32 v6, v8, v6, v7
	v_mul_lo_u32 v7, v5, s58
	v_mul_lo_u32 v5, v6, s74
	v_add3_u32 v2, v5, v2, v7
	s_cbranch_vccz .LBB90_21
; %bb.20:                               ;   in Loop: Header=BB90_3 Depth=1
	v_lshlrev_b64 v[5:6], 1, v[1:2]
	v_mov_b32_e32 v7, s64
	v_add_co_u32_e32 v5, vcc, s63, v5
	v_addc_co_u32_e32 v6, vcc, v7, v6, vcc
	global_load_ushort v7, v[5:6], off
	s_waitcnt vmcnt(0)
	v_lshlrev_b32_e32 v7, 16, v7
	v_cvt_f64_f32_e32 v[7:8], v7
	v_mul_f64 v[7:8], s[30:31], v[7:8]
	v_fma_f64 v[7:8], s[28:29], v[3:4], v[7:8]
	v_cvt_f32_f64_e32 v7, v[7:8]
	v_and_b32_e32 v8, 0x7f800000, v7
	v_cmp_ne_u32_sdwa s[0:1], v7, v12 src0_sel:WORD_0 src1_sel:DWORD
	v_cmp_eq_u32_e32 vcc, s83, v8
	s_and_b64 s[0:1], vcc, s[0:1]
	v_cndmask_b32_e64 v8, 0, 1, s[0:1]
	v_or_b32_sdwa v7, v7, v8 dst_sel:DWORD dst_unused:UNUSED_PAD src0_sel:WORD_1 src1_sel:DWORD
	global_store_short v[5:6], v7, off
	s_mov_b64 s[0:1], 0
.LBB90_21:                              ;   in Loop: Header=BB90_3 Depth=1
	s_andn2_b64 vcc, exec, s[0:1]
	s_cbranch_vccnz .LBB90_2
; %bb.22:                               ;   in Loop: Header=BB90_3 Depth=1
	v_cvt_f32_f64_e32 v3, v[3:4]
	v_lshlrev_b64 v[1:2], 1, v[1:2]
	v_and_b32_e32 v4, 0x7f800000, v3
	v_cmp_ne_u32_sdwa s[0:1], v3, v12 src0_sel:WORD_0 src1_sel:DWORD
	v_cmp_eq_u32_e32 vcc, s83, v4
	s_and_b64 s[0:1], vcc, s[0:1]
	v_cndmask_b32_e64 v4, 0, 1, s[0:1]
	v_or_b32_sdwa v3, v3, v4 dst_sel:DWORD dst_unused:UNUSED_PAD src0_sel:WORD_1 src1_sel:DWORD
	v_mov_b32_e32 v4, s64
	v_add_co_u32_e32 v1, vcc, s63, v1
	v_addc_co_u32_e32 v2, vcc, v4, v2, vcc
	global_store_short v[1:2], v3, off
	s_branch .LBB90_2
.LBB90_23:
	s_endpgm
	.section	.rodata,"a",@progbits
	.p2align	6, 0x0
	.amdhsa_kernel naive_conv_ab_packed_wrw_ndhwc_ushort_double_ushort
		.amdhsa_group_segment_fixed_size 0
		.amdhsa_private_segment_fixed_size 0
		.amdhsa_kernarg_size 528
		.amdhsa_user_sgpr_count 6
		.amdhsa_user_sgpr_private_segment_buffer 1
		.amdhsa_user_sgpr_dispatch_ptr 0
		.amdhsa_user_sgpr_queue_ptr 0
		.amdhsa_user_sgpr_kernarg_segment_ptr 1
		.amdhsa_user_sgpr_dispatch_id 0
		.amdhsa_user_sgpr_flat_scratch_init 0
		.amdhsa_user_sgpr_private_segment_size 0
		.amdhsa_uses_dynamic_stack 0
		.amdhsa_system_sgpr_private_segment_wavefront_offset 0
		.amdhsa_system_sgpr_workgroup_id_x 1
		.amdhsa_system_sgpr_workgroup_id_y 0
		.amdhsa_system_sgpr_workgroup_id_z 0
		.amdhsa_system_sgpr_workgroup_info 0
		.amdhsa_system_vgpr_workitem_id 0
		.amdhsa_next_free_vgpr 28
		.amdhsa_next_free_sgpr 92
		.amdhsa_reserve_vcc 1
		.amdhsa_reserve_flat_scratch 0
		.amdhsa_float_round_mode_32 0
		.amdhsa_float_round_mode_16_64 0
		.amdhsa_float_denorm_mode_32 3
		.amdhsa_float_denorm_mode_16_64 3
		.amdhsa_dx10_clamp 1
		.amdhsa_ieee_mode 1
		.amdhsa_fp16_overflow 0
		.amdhsa_exception_fp_ieee_invalid_op 0
		.amdhsa_exception_fp_denorm_src 0
		.amdhsa_exception_fp_ieee_div_zero 0
		.amdhsa_exception_fp_ieee_overflow 0
		.amdhsa_exception_fp_ieee_underflow 0
		.amdhsa_exception_fp_ieee_inexact 0
		.amdhsa_exception_int_div_zero 0
	.end_amdhsa_kernel
	.text
.Lfunc_end90:
	.size	naive_conv_ab_packed_wrw_ndhwc_ushort_double_ushort, .Lfunc_end90-naive_conv_ab_packed_wrw_ndhwc_ushort_double_ushort
                                        ; -- End function
	.set naive_conv_ab_packed_wrw_ndhwc_ushort_double_ushort.num_vgpr, 28
	.set naive_conv_ab_packed_wrw_ndhwc_ushort_double_ushort.num_agpr, 0
	.set naive_conv_ab_packed_wrw_ndhwc_ushort_double_ushort.numbered_sgpr, 92
	.set naive_conv_ab_packed_wrw_ndhwc_ushort_double_ushort.num_named_barrier, 0
	.set naive_conv_ab_packed_wrw_ndhwc_ushort_double_ushort.private_seg_size, 0
	.set naive_conv_ab_packed_wrw_ndhwc_ushort_double_ushort.uses_vcc, 1
	.set naive_conv_ab_packed_wrw_ndhwc_ushort_double_ushort.uses_flat_scratch, 0
	.set naive_conv_ab_packed_wrw_ndhwc_ushort_double_ushort.has_dyn_sized_stack, 0
	.set naive_conv_ab_packed_wrw_ndhwc_ushort_double_ushort.has_recursion, 0
	.set naive_conv_ab_packed_wrw_ndhwc_ushort_double_ushort.has_indirect_call, 0
	.section	.AMDGPU.csdata,"",@progbits
; Kernel info:
; codeLenInByte = 2096
; TotalNumSgprs: 96
; NumVgprs: 28
; ScratchSize: 0
; MemoryBound: 0
; FloatMode: 240
; IeeeMode: 1
; LDSByteSize: 0 bytes/workgroup (compile time only)
; SGPRBlocks: 11
; VGPRBlocks: 6
; NumSGPRsForWavesPerEU: 96
; NumVGPRsForWavesPerEU: 28
; Occupancy: 8
; WaveLimiterHint : 0
; COMPUTE_PGM_RSRC2:SCRATCH_EN: 0
; COMPUTE_PGM_RSRC2:USER_SGPR: 6
; COMPUTE_PGM_RSRC2:TRAP_HANDLER: 0
; COMPUTE_PGM_RSRC2:TGID_X_EN: 1
; COMPUTE_PGM_RSRC2:TGID_Y_EN: 0
; COMPUTE_PGM_RSRC2:TGID_Z_EN: 0
; COMPUTE_PGM_RSRC2:TIDIG_COMP_CNT: 0
	.text
	.protected	naive_conv_ab_nonpacked_wrw_ndhwc_ushort_double_ushort ; -- Begin function naive_conv_ab_nonpacked_wrw_ndhwc_ushort_double_ushort
	.globl	naive_conv_ab_nonpacked_wrw_ndhwc_ushort_double_ushort
	.p2align	8
	.type	naive_conv_ab_nonpacked_wrw_ndhwc_ushort_double_ushort,@function
naive_conv_ab_nonpacked_wrw_ndhwc_ushort_double_ushort: ; @naive_conv_ab_nonpacked_wrw_ndhwc_ushort_double_ushort
; %bb.0:
	s_load_dwordx16 s[8:23], s[4:5], 0xb8
	s_load_dword s73, s[4:5], 0x108
	s_load_dwordx4 s[68:71], s[4:5], 0xf8
	s_waitcnt lgkmcnt(0)
	s_abs_i32 s0, s12
	v_cvt_f32_u32_e32 v1, s0
	s_mul_i32 s72, s73, s13
	s_mul_i32 s7, s72, s71
	;; [unrolled: 1-line block ×3, first 2 shown]
	v_rcp_iflag_f32_e32 v1, v1
	v_cmp_gt_i32_e32 vcc, s33, v0
	v_mul_f32_e32 v1, 0x4f7ffffe, v1
	v_cvt_u32_f32_e32 v1, v1
	v_readfirstlane_b32 s1, v1
	s_and_saveexec_b64 s[2:3], vcc
	s_cbranch_execz .LBB91_23
; %bb.1:
	s_sub_i32 s35, 0, s0
	s_mul_i32 s35, s35, s1
	s_mul_hi_u32 s35, s1, s35
	s_abs_i32 s34, s6
	s_add_i32 s1, s1, s35
	s_ashr_i32 s2, s6, 31
	s_ashr_i32 s3, s12, 31
	s_mul_hi_u32 s1, s34, s1
	s_xor_b32 s2, s2, s3
	s_mul_i32 s3, s1, s0
	s_sub_i32 s3, s34, s3
	s_add_i32 s34, s1, 1
	s_sub_i32 s35, s3, s0
	s_cmp_ge_u32 s3, s0
	s_cselect_b32 s1, s34, s1
	s_cselect_b32 s3, s35, s3
	s_add_i32 s34, s1, 1
	s_load_dwordx16 s[36:51], s[4:5], 0x28
	s_cmp_ge_u32 s3, s0
	s_cselect_b32 s0, s34, s1
	s_xor_b32 s0, s0, s2
	s_sub_i32 s34, s0, s2
	s_load_dwordx8 s[24:31], s[4:5], 0x0
	s_mul_i32 s0, s34, s12
	s_ashr_i32 s35, s34, 31
	s_sub_i32 s6, s6, s0
	s_waitcnt lgkmcnt(0)
	s_mul_i32 s0, s38, s35
	s_mul_hi_u32 s1, s38, s34
	s_load_dwordx16 s[52:67], s[4:5], 0x68
	s_add_i32 s0, s1, s0
	s_mul_i32 s1, s39, s34
	s_add_i32 s1, s0, s1
	s_mul_i32 s0, s38, s34
	s_lshl_b64 s[0:1], s[0:1], 1
	s_add_u32 s12, s24, s0
	s_addc_u32 s78, s25, s1
	s_waitcnt lgkmcnt(0)
	s_mul_i32 s0, s58, s35
	s_mul_hi_u32 s1, s58, s34
	s_ashr_i32 s24, s6, 31
	s_add_i32 s0, s1, s0
	s_mul_i32 s1, s56, s24
	s_mul_hi_u32 s2, s56, s6
	s_add_i32 s2, s2, s1
	s_mul_i32 s1, s59, s34
	s_add_i32 s1, s0, s1
	s_mul_i32 s0, s58, s34
	s_mul_i32 s3, s57, s6
	s_add_i32 s3, s2, s3
	s_lshl_b64 s[0:1], s[0:1], 1
	s_add_u32 s25, s26, s0
	s_mul_i32 s2, s56, s6
	s_addc_u32 s26, s27, s1
	s_lshl_b64 s[0:1], s[2:3], 1
	s_add_u32 s79, s25, s0
	s_load_dwordx2 s[2:3], s[4:5], 0x20
	s_addc_u32 s80, s26, s1
	s_mul_i32 s0, s62, s35
	s_mul_hi_u32 s1, s62, s34
	s_add_i32 s0, s1, s0
	s_mul_i32 s1, s63, s34
	s_mul_i32 s24, s60, s24
	s_mul_hi_u32 s25, s60, s6
	s_add_i32 s1, s0, s1
	s_mul_i32 s0, s62, s34
	s_add_i32 s24, s25, s24
	s_mul_i32 s25, s61, s6
	s_add_i32 s25, s24, s25
	s_lshl_b64 s[0:1], s[0:1], 1
	s_waitcnt lgkmcnt(0)
	s_add_u32 s2, s2, s0
	s_mul_i32 s24, s60, s6
	s_addc_u32 s3, s3, s1
	s_lshl_b64 s[0:1], s[24:25], 1
	s_add_u32 s24, s2, s0
	s_addc_u32 s25, s3, s1
	s_cmp_lt_i32 s11, 1
	s_cselect_b64 s[26:27], -1, 0
	s_cmp_gt_i32 s14, 0
	s_cselect_b64 s[34:35], -1, 0
	s_cmp_gt_i32 s15, 0
	;; [unrolled: 2-line block ×3, first 2 shown]
	s_cselect_b64 s[56:57], -1, 0
	s_abs_i32 s83, s72
	v_cvt_f32_u32_e32 v5, s83
	s_abs_i32 s84, s71
	v_cmp_neq_f64_e64 s[0:1], s[28:29], 1.0
	v_cmp_neq_f64_e64 s[2:3], s[30:31], 0
	v_rcp_iflag_f32_e32 v5, v5
	s_abs_i32 s81, s13
	v_cvt_f32_u32_e32 v1, s81
	s_abs_i32 s82, s73
	v_mul_f32_e32 v5, 0x4f7ffffe, v5
	v_cvt_u32_f32_e32 v8, v5
	v_cvt_f32_u32_e32 v5, s84
	v_cvt_f32_u32_e32 v3, s82
	v_rcp_iflag_f32_e32 v1, v1
	s_abs_i32 s85, s7
	v_rcp_iflag_f32_e32 v5, v5
	v_rcp_iflag_f32_e32 v3, v3
	s_or_b64 s[58:59], s[0:1], s[2:3]
	s_load_dwordx4 s[0:3], s[4:5], 0xa8
	v_mul_f32_e32 v5, 0x4f7ffffe, v5
	v_cvt_u32_f32_e32 v10, v5
	v_cvt_f32_u32_e32 v5, s85
	v_mul_f32_e32 v1, 0x4f7ffffe, v1
	v_cvt_u32_f32_e32 v1, v1
	v_mul_f32_e32 v3, 0x4f7ffffe, v3
	v_rcp_iflag_f32_e32 v5, v5
	v_cvt_u32_f32_e32 v3, v3
	s_waitcnt lgkmcnt(0)
	s_lshl_b64 s[62:63], s[0:1], 1
	s_sub_i32 s1, 0, s81
	v_mul_lo_u32 v2, s1, v1
	s_sub_i32 s1, 0, s82
	v_mul_f32_e32 v5, 0x4f7ffffe, v5
	v_mul_lo_u32 v4, s1, v3
	v_cvt_u32_f32_e32 v12, v5
	s_sub_i32 s1, 0, s83
	v_mul_lo_u32 v9, s1, v8
	s_sub_i32 s1, 0, s84
	v_mul_lo_u32 v11, s1, v10
	;; [unrolled: 2-line block ×3, first 2 shown]
	v_mul_hi_u32 v2, v1, v2
	v_mul_hi_u32 v4, v3, v4
	s_load_dword s0, s[4:5], 0x11c
	s_lshl_b64 s[60:61], s[2:3], 1
	v_add_u32_e32 v5, v1, v2
	v_add_u32_e32 v7, v3, v4
	v_mul_hi_u32 v1, v8, v9
	v_mul_hi_u32 v2, v10, v11
	;; [unrolled: 1-line block ×3, first 2 shown]
	s_waitcnt lgkmcnt(0)
	s_and_b32 s86, s0, 0xffff
	v_mov_b32_e32 v6, 0
	s_ashr_i32 s87, s72, 31
	v_add_u32_e32 v8, v8, v1
	v_add_u32_e32 v9, v10, v2
	s_ashr_i32 s88, s7, 31
	v_add_u32_e32 v10, v12, v3
	s_ashr_i32 s89, s13, 31
	s_sub_i32 s69, 0, s69
	s_mov_b32 s90, 0x7f800000
	s_mov_b64 s[70:71], 0
	s_lshl_b64 s[66:67], s[66:67], 1
	s_lshl_b64 s[64:65], s[64:65], 1
	s_branch .LBB91_3
.LBB91_2:                               ;   in Loop: Header=BB91_3 Depth=1
	v_add_u32_e32 v0, s86, v0
	v_cmp_le_i32_e32 vcc, s33, v0
	s_or_b64 s[70:71], vcc, s[70:71]
	s_andn2_b64 exec, exec, s[70:71]
	s_cbranch_execz .LBB91_23
.LBB91_3:                               ; =>This Loop Header: Depth=1
                                        ;     Child Loop BB91_8 Depth 2
                                        ;       Child Loop BB91_11 Depth 3
                                        ;         Child Loop BB91_14 Depth 4
                                        ;           Child Loop BB91_17 Depth 5
	v_sub_u32_e32 v1, 0, v0
	v_max_i32_e32 v12, v0, v1
	v_mul_hi_u32 v2, v12, v5
	v_ashrrev_i32_e32 v1, 31, v0
	v_xor_b32_e32 v4, s89, v1
	s_mov_b64 s[72:73], -1
	v_mul_lo_u32 v3, v2, s81
	v_add_u32_e32 v11, 1, v2
	v_sub_u32_e32 v3, v12, v3
	v_cmp_le_u32_e32 vcc, s81, v3
	v_cndmask_b32_e32 v2, v2, v11, vcc
	v_subrev_u32_e32 v11, s81, v3
	v_cndmask_b32_e32 v3, v3, v11, vcc
	v_add_u32_e32 v11, 1, v2
	v_cmp_le_u32_e32 vcc, s81, v3
	v_cndmask_b32_e32 v2, v2, v11, vcc
	v_xor_b32_e32 v2, v2, v4
	v_sub_u32_e32 v2, v2, v4
	v_mul_hi_u32 v4, v12, v8
	v_sub_u32_e32 v3, 0, v2
	v_max_i32_e32 v13, v2, v3
	v_mul_hi_u32 v3, v13, v7
	v_mul_lo_u32 v11, v4, s83
	v_add_u32_e32 v16, 1, v4
	v_mul_lo_u32 v14, v2, s13
	v_mul_lo_u32 v15, v3, s82
	v_sub_u32_e32 v11, v12, v11
	v_cmp_le_u32_e32 vcc, s83, v11
	v_cndmask_b32_e32 v4, v4, v16, vcc
	v_subrev_u32_e32 v16, s83, v11
	v_cndmask_b32_e32 v11, v11, v16, vcc
	v_add_u32_e32 v16, 1, v4
	v_cmp_le_u32_e32 vcc, s83, v11
	v_xor_b32_e32 v3, s87, v1
	v_cndmask_b32_e32 v4, v4, v16, vcc
	v_xor_b32_e32 v4, v4, v3
	v_sub_u32_e32 v3, v4, v3
	v_sub_u32_e32 v4, 0, v3
	v_max_i32_e32 v16, v3, v4
	v_mul_hi_u32 v4, v16, v9
	v_sub_u32_e32 v13, v13, v15
	v_sub_u32_e32 v11, v0, v14
	v_subrev_u32_e32 v14, s82, v13
	v_cmp_le_u32_e32 vcc, s82, v13
	v_mul_lo_u32 v15, v4, s84
	v_cndmask_b32_e32 v4, v13, v14, vcc
	v_mul_hi_u32 v13, v12, v10
	v_cmp_le_u32_e64 s[0:1], s82, v4
	v_sub_u32_e32 v14, v16, v15
	v_subrev_u32_e32 v15, s84, v14
	v_mul_lo_u32 v16, v13, s85
	v_cmp_le_u32_e32 vcc, s84, v14
	v_cndmask_b32_e32 v14, v14, v15, vcc
	v_cmp_le_u32_e64 s[6:7], s84, v14
	v_sub_u32_e32 v12, v12, v16
	v_subrev_u32_e32 v15, s85, v12
	v_cmp_le_u32_e64 s[2:3], s85, v12
	v_cndmask_b32_e64 v12, v12, v15, s[2:3]
	v_cmp_le_u32_e64 s[4:5], s85, v12
	s_andn2_b64 vcc, exec, s[26:27]
                                        ; implicit-def: $vgpr12
	s_cbranch_vccnz .LBB91_5
; %bb.4:                                ;   in Loop: Header=BB91_3 Depth=1
	v_ashrrev_i32_e32 v12, 31, v11
	s_mov_b64 s[72:73], 0
.LBB91_5:                               ;   in Loop: Header=BB91_3 Depth=1
	v_subrev_u32_e32 v15, s82, v4
	v_ashrrev_i32_e32 v2, 31, v2
	v_cndmask_b32_e64 v4, v4, v15, s[0:1]
	v_xor_b32_e32 v4, v4, v2
	v_sub_u32_e32 v4, v4, v2
	v_ashrrev_i32_e32 v2, 31, v3
	v_subrev_u32_e32 v3, s84, v14
	v_cndmask_b32_e64 v3, v14, v3, s[6:7]
	v_xor_b32_e32 v14, s88, v1
	v_add_u32_e32 v1, 1, v13
	v_xor_b32_e32 v3, v3, v2
	v_cndmask_b32_e64 v1, v13, v1, s[2:3]
	v_sub_u32_e32 v3, v3, v2
	v_add_u32_e32 v2, 1, v1
	v_cndmask_b32_e64 v1, v1, v2, s[4:5]
	v_xor_b32_e32 v13, v1, v14
	v_mov_b32_e32 v1, 0
	v_mov_b32_e32 v2, 0
	s_andn2_b64 vcc, exec, s[72:73]
	v_sub_u32_e32 v13, v13, v14
	s_cbranch_vccnz .LBB91_19
; %bb.6:                                ;   in Loop: Header=BB91_3 Depth=1
	v_ashrrev_i32_e32 v12, 31, v11
	v_mul_lo_u32 v16, s37, v11
	v_mul_lo_u32 v17, s36, v12
	v_mad_u64_u32 v[1:2], s[0:1], s36, v11, 0
	v_mul_lo_u32 v18, v4, s22
	v_mul_lo_u32 v14, v13, s20
	v_add3_u32 v2, v2, v17, v16
	v_lshlrev_b64 v[1:2], 1, v[1:2]
	v_mul_lo_u32 v15, v3, s21
	v_mov_b32_e32 v17, s78
	v_add_co_u32_e32 v16, vcc, s12, v1
	v_addc_co_u32_e32 v17, vcc, v17, v2, vcc
	v_mov_b32_e32 v1, 0
	v_add_u32_e32 v18, s69, v18
	s_mov_b32 s91, 0
	v_mov_b32_e32 v2, 0
	s_mov_b64 s[2:3], s[24:25]
	s_branch .LBB91_8
.LBB91_7:                               ;   in Loop: Header=BB91_8 Depth=2
	s_add_i32 s91, s91, 1
	s_add_u32 s2, s2, s60
	s_addc_u32 s3, s3, s61
	s_cmp_eq_u32 s91, s11
	s_cbranch_scc1 .LBB91_19
.LBB91_8:                               ;   Parent Loop BB91_3 Depth=1
                                        ; =>  This Loop Header: Depth=2
                                        ;       Child Loop BB91_11 Depth 3
                                        ;         Child Loop BB91_14 Depth 4
                                        ;           Child Loop BB91_17 Depth 5
	s_andn2_b64 vcc, exec, s[34:35]
	s_cbranch_vccnz .LBB91_7
; %bb.9:                                ;   in Loop: Header=BB91_8 Depth=2
	s_mul_i32 s0, s47, s91
	s_mul_hi_u32 s1, s46, s91
	s_add_i32 s1, s1, s0
	s_mul_i32 s0, s46, s91
	s_lshl_b64 s[0:1], s[0:1], 1
	v_mov_b32_e32 v20, s1
	v_add_co_u32_e32 v19, vcc, s0, v16
	v_addc_co_u32_e32 v20, vcc, v17, v20, vcc
	s_mov_b32 s92, 0
	s_mov_b64 s[4:5], s[2:3]
	s_branch .LBB91_11
.LBB91_10:                              ;   in Loop: Header=BB91_11 Depth=3
	s_add_i32 s92, s92, 1
	s_add_u32 s4, s4, s62
	s_addc_u32 s5, s5, s63
	s_cmp_eq_u32 s92, s14
	s_cbranch_scc1 .LBB91_7
.LBB91_11:                              ;   Parent Loop BB91_3 Depth=1
                                        ;     Parent Loop BB91_8 Depth=2
                                        ; =>    This Loop Header: Depth=3
                                        ;         Child Loop BB91_14 Depth 4
                                        ;           Child Loop BB91_17 Depth 5
	s_andn2_b64 vcc, exec, s[38:39]
	s_cbranch_vccnz .LBB91_10
; %bb.12:                               ;   in Loop: Header=BB91_11 Depth=3
	s_mul_i32 s0, s92, s17
	s_sub_i32 s0, s0, s23
	v_add_u32_e32 v24, s0, v14
	v_mad_u64_u32 v[21:22], s[0:1], s44, v24, 0
	v_cmp_gt_i32_e32 vcc, 0, v24
	s_mov_b32 s93, 0
	v_mad_u64_u32 v[22:23], s[0:1], s45, v24, v[22:23]
	v_cmp_le_i32_e64 s[0:1], s8, v24
	s_or_b64 s[6:7], vcc, s[0:1]
	v_lshlrev_b64 v[21:22], 1, v[21:22]
	s_mov_b64 s[72:73], s[4:5]
	v_add_co_u32_e32 v21, vcc, v19, v21
	v_addc_co_u32_e32 v22, vcc, v20, v22, vcc
	s_branch .LBB91_14
.LBB91_13:                              ;   in Loop: Header=BB91_14 Depth=4
	s_add_i32 s93, s93, 1
	s_add_u32 s72, s72, s66
	s_addc_u32 s73, s73, s67
	s_cmp_eq_u32 s93, s15
	s_cbranch_scc1 .LBB91_10
.LBB91_14:                              ;   Parent Loop BB91_3 Depth=1
                                        ;     Parent Loop BB91_8 Depth=2
                                        ;       Parent Loop BB91_11 Depth=3
                                        ; =>      This Loop Header: Depth=4
                                        ;           Child Loop BB91_17 Depth 5
	s_andn2_b64 vcc, exec, s[56:57]
	s_cbranch_vccnz .LBB91_13
; %bb.15:                               ;   in Loop: Header=BB91_14 Depth=4
	s_mul_i32 s0, s93, s18
	s_sub_i32 s0, s0, s68
	v_add_u32_e32 v26, s0, v15
	v_mad_u64_u32 v[23:24], s[0:1], s42, v26, 0
	v_cmp_gt_i32_e32 vcc, 0, v26
	s_mov_b64 s[76:77], s[72:73]
	v_mad_u64_u32 v[24:25], s[0:1], s43, v26, v[24:25]
	v_cmp_le_i32_e64 s[0:1], s9, v26
	s_or_b64 s[0:1], vcc, s[0:1]
	v_lshlrev_b64 v[23:24], 1, v[23:24]
	s_or_b64 s[74:75], s[6:7], s[0:1]
	v_add_co_u32_e32 v23, vcc, v21, v23
	v_addc_co_u32_e32 v24, vcc, v22, v24, vcc
	v_mov_b32_e32 v25, v18
	s_mov_b32 s94, s16
	s_branch .LBB91_17
.LBB91_16:                              ;   in Loop: Header=BB91_17 Depth=5
	s_or_b64 exec, exec, s[0:1]
	s_add_i32 s94, s94, -1
	s_add_u32 s76, s76, s64
	s_addc_u32 s77, s77, s65
	s_cmp_eq_u32 s94, 0
	v_add_u32_e32 v25, s19, v25
	s_cbranch_scc1 .LBB91_13
.LBB91_17:                              ;   Parent Loop BB91_3 Depth=1
                                        ;     Parent Loop BB91_8 Depth=2
                                        ;       Parent Loop BB91_11 Depth=3
                                        ;         Parent Loop BB91_14 Depth=4
                                        ; =>        This Inner Loop Header: Depth=5
	v_cmp_gt_i32_e32 vcc, 0, v25
	v_cmp_le_i32_e64 s[0:1], s10, v25
	s_or_b64 s[0:1], vcc, s[0:1]
	s_nor_b64 vcc, s[74:75], s[0:1]
	s_and_saveexec_b64 s[0:1], vcc
	s_cbranch_execz .LBB91_16
; %bb.18:                               ;   in Loop: Header=BB91_17 Depth=5
	v_mad_u64_u32 v[26:27], vcc, s40, v25, 0
	v_mad_u64_u32 v[27:28], vcc, s41, v25, v[27:28]
	global_load_ushort v28, v6, s[76:77]
	v_lshlrev_b64 v[26:27], 1, v[26:27]
	v_add_co_u32_e32 v26, vcc, v23, v26
	v_addc_co_u32_e32 v27, vcc, v24, v27, vcc
	global_load_ushort v26, v[26:27], off
	s_waitcnt vmcnt(1)
	v_lshlrev_b32_e32 v28, 16, v28
	v_cvt_f64_f32_e32 v[28:29], v28
	s_waitcnt vmcnt(0)
	v_lshlrev_b32_e32 v26, 16, v26
	v_cvt_f64_f32_e32 v[26:27], v26
	v_fma_f64 v[1:2], v[26:27], v[28:29], v[1:2]
	s_branch .LBB91_16
.LBB91_19:                              ;   in Loop: Header=BB91_3 Depth=1
	v_ashrrev_i32_e32 v14, 31, v4
	v_mul_lo_u32 v16, s51, v4
	v_mul_lo_u32 v17, s50, v14
	v_mad_u64_u32 v[14:15], s[0:1], s50, v4, 0
	v_ashrrev_i32_e32 v4, 31, v3
	v_mul_lo_u32 v4, s52, v4
	v_add3_u32 v15, v15, v17, v16
	v_mad_u64_u32 v[14:15], s[0:1], s52, v3, v[14:15]
	v_mul_lo_u32 v3, s53, v3
	v_ashrrev_i32_e32 v16, 31, v13
	v_mul_lo_u32 v12, v12, s48
	s_and_b64 vcc, exec, s[58:59]
	v_add3_u32 v15, v3, v15, v4
	v_mad_u64_u32 v[3:4], s[0:1], s54, v13, v[14:15]
	v_mul_lo_u32 v13, s55, v13
	v_mul_lo_u32 v14, s54, v16
	v_add3_u32 v4, v13, v4, v14
	v_mad_u64_u32 v[3:4], s[0:1], v11, s48, v[3:4]
	v_mul_lo_u32 v11, v11, s49
	s_mov_b64 s[0:1], -1
	v_add3_u32 v4, v12, v4, v11
	s_cbranch_vccz .LBB91_21
; %bb.20:                               ;   in Loop: Header=BB91_3 Depth=1
	v_lshlrev_b64 v[11:12], 1, v[3:4]
	v_mov_b32_e32 v13, s80
	v_add_co_u32_e32 v11, vcc, s79, v11
	v_addc_co_u32_e32 v12, vcc, v13, v12, vcc
	global_load_ushort v13, v[11:12], off
	s_waitcnt vmcnt(0)
	v_lshlrev_b32_e32 v13, 16, v13
	v_cvt_f64_f32_e32 v[13:14], v13
	v_mul_f64 v[13:14], s[30:31], v[13:14]
	v_fma_f64 v[13:14], s[28:29], v[1:2], v[13:14]
	v_cvt_f32_f64_e32 v13, v[13:14]
	v_and_b32_e32 v14, 0x7f800000, v13
	v_cmp_ne_u32_sdwa s[0:1], v13, v6 src0_sel:WORD_0 src1_sel:DWORD
	v_cmp_eq_u32_e32 vcc, s90, v14
	s_and_b64 s[0:1], vcc, s[0:1]
	v_cndmask_b32_e64 v14, 0, 1, s[0:1]
	v_or_b32_sdwa v13, v13, v14 dst_sel:DWORD dst_unused:UNUSED_PAD src0_sel:WORD_1 src1_sel:DWORD
	global_store_short v[11:12], v13, off
	s_mov_b64 s[0:1], 0
.LBB91_21:                              ;   in Loop: Header=BB91_3 Depth=1
	s_andn2_b64 vcc, exec, s[0:1]
	s_cbranch_vccnz .LBB91_2
; %bb.22:                               ;   in Loop: Header=BB91_3 Depth=1
	v_cvt_f32_f64_e32 v11, v[1:2]
	v_lshlrev_b64 v[1:2], 1, v[3:4]
	v_mov_b32_e32 v4, s80
	v_and_b32_e32 v3, 0x7f800000, v11
	v_cmp_ne_u32_sdwa s[0:1], v11, v6 src0_sel:WORD_0 src1_sel:DWORD
	v_cmp_eq_u32_e32 vcc, s90, v3
	s_and_b64 s[0:1], vcc, s[0:1]
	v_cndmask_b32_e64 v3, 0, 1, s[0:1]
	v_add_co_u32_e32 v1, vcc, s79, v1
	v_or_b32_sdwa v3, v11, v3 dst_sel:DWORD dst_unused:UNUSED_PAD src0_sel:WORD_1 src1_sel:DWORD
	v_addc_co_u32_e32 v2, vcc, v4, v2, vcc
	global_store_short v[1:2], v3, off
	s_branch .LBB91_2
.LBB91_23:
	s_endpgm
	.section	.rodata,"a",@progbits
	.p2align	6, 0x0
	.amdhsa_kernel naive_conv_ab_nonpacked_wrw_ndhwc_ushort_double_ushort
		.amdhsa_group_segment_fixed_size 0
		.amdhsa_private_segment_fixed_size 0
		.amdhsa_kernarg_size 528
		.amdhsa_user_sgpr_count 6
		.amdhsa_user_sgpr_private_segment_buffer 1
		.amdhsa_user_sgpr_dispatch_ptr 0
		.amdhsa_user_sgpr_queue_ptr 0
		.amdhsa_user_sgpr_kernarg_segment_ptr 1
		.amdhsa_user_sgpr_dispatch_id 0
		.amdhsa_user_sgpr_flat_scratch_init 0
		.amdhsa_user_sgpr_private_segment_size 0
		.amdhsa_uses_dynamic_stack 0
		.amdhsa_system_sgpr_private_segment_wavefront_offset 0
		.amdhsa_system_sgpr_workgroup_id_x 1
		.amdhsa_system_sgpr_workgroup_id_y 0
		.amdhsa_system_sgpr_workgroup_id_z 0
		.amdhsa_system_sgpr_workgroup_info 0
		.amdhsa_system_vgpr_workitem_id 0
		.amdhsa_next_free_vgpr 30
		.amdhsa_next_free_sgpr 95
		.amdhsa_reserve_vcc 1
		.amdhsa_reserve_flat_scratch 0
		.amdhsa_float_round_mode_32 0
		.amdhsa_float_round_mode_16_64 0
		.amdhsa_float_denorm_mode_32 3
		.amdhsa_float_denorm_mode_16_64 3
		.amdhsa_dx10_clamp 1
		.amdhsa_ieee_mode 1
		.amdhsa_fp16_overflow 0
		.amdhsa_exception_fp_ieee_invalid_op 0
		.amdhsa_exception_fp_denorm_src 0
		.amdhsa_exception_fp_ieee_div_zero 0
		.amdhsa_exception_fp_ieee_overflow 0
		.amdhsa_exception_fp_ieee_underflow 0
		.amdhsa_exception_fp_ieee_inexact 0
		.amdhsa_exception_int_div_zero 0
	.end_amdhsa_kernel
	.text
.Lfunc_end91:
	.size	naive_conv_ab_nonpacked_wrw_ndhwc_ushort_double_ushort, .Lfunc_end91-naive_conv_ab_nonpacked_wrw_ndhwc_ushort_double_ushort
                                        ; -- End function
	.set naive_conv_ab_nonpacked_wrw_ndhwc_ushort_double_ushort.num_vgpr, 30
	.set naive_conv_ab_nonpacked_wrw_ndhwc_ushort_double_ushort.num_agpr, 0
	.set naive_conv_ab_nonpacked_wrw_ndhwc_ushort_double_ushort.numbered_sgpr, 95
	.set naive_conv_ab_nonpacked_wrw_ndhwc_ushort_double_ushort.num_named_barrier, 0
	.set naive_conv_ab_nonpacked_wrw_ndhwc_ushort_double_ushort.private_seg_size, 0
	.set naive_conv_ab_nonpacked_wrw_ndhwc_ushort_double_ushort.uses_vcc, 1
	.set naive_conv_ab_nonpacked_wrw_ndhwc_ushort_double_ushort.uses_flat_scratch, 0
	.set naive_conv_ab_nonpacked_wrw_ndhwc_ushort_double_ushort.has_dyn_sized_stack, 0
	.set naive_conv_ab_nonpacked_wrw_ndhwc_ushort_double_ushort.has_recursion, 0
	.set naive_conv_ab_nonpacked_wrw_ndhwc_ushort_double_ushort.has_indirect_call, 0
	.section	.AMDGPU.csdata,"",@progbits
; Kernel info:
; codeLenInByte = 2092
; TotalNumSgprs: 99
; NumVgprs: 30
; ScratchSize: 0
; MemoryBound: 0
; FloatMode: 240
; IeeeMode: 1
; LDSByteSize: 0 bytes/workgroup (compile time only)
; SGPRBlocks: 12
; VGPRBlocks: 7
; NumSGPRsForWavesPerEU: 99
; NumVGPRsForWavesPerEU: 30
; Occupancy: 8
; WaveLimiterHint : 0
; COMPUTE_PGM_RSRC2:SCRATCH_EN: 0
; COMPUTE_PGM_RSRC2:USER_SGPR: 6
; COMPUTE_PGM_RSRC2:TRAP_HANDLER: 0
; COMPUTE_PGM_RSRC2:TGID_X_EN: 1
; COMPUTE_PGM_RSRC2:TGID_Y_EN: 0
; COMPUTE_PGM_RSRC2:TGID_Z_EN: 0
; COMPUTE_PGM_RSRC2:TIDIG_COMP_CNT: 0
	.section	.AMDGPU.gpr_maximums,"",@progbits
	.set amdgpu.max_num_vgpr, 0
	.set amdgpu.max_num_agpr, 0
	.set amdgpu.max_num_sgpr, 0
	.section	.AMDGPU.csdata,"",@progbits
	.type	__hip_cuid_560f0aaa71a4c687,@object ; @__hip_cuid_560f0aaa71a4c687
	.section	.bss,"aw",@nobits
	.globl	__hip_cuid_560f0aaa71a4c687
__hip_cuid_560f0aaa71a4c687:
	.byte	0                               ; 0x0
	.size	__hip_cuid_560f0aaa71a4c687, 1

	.ident	"AMD clang version 22.0.0git (https://github.com/RadeonOpenCompute/llvm-project roc-7.2.4 26084 f58b06dce1f9c15707c5f808fd002e18c2accf7e)"
	.section	".note.GNU-stack","",@progbits
	.addrsig
	.addrsig_sym __hip_cuid_560f0aaa71a4c687
	.amdgpu_metadata
---
amdhsa.kernels:
  - .args:
      - .actual_access:  read_only
        .address_space:  global
        .offset:         0
        .size:           8
        .value_kind:     global_buffer
      - .actual_access:  read_only
        .address_space:  global
        .offset:         8
        .size:           8
        .value_kind:     global_buffer
      - .offset:         16
        .size:           8
        .value_kind:     by_value
      - .offset:         24
        .size:           8
        .value_kind:     by_value
      - .address_space:  global
        .offset:         32
        .size:           8
        .value_kind:     global_buffer
      - .offset:         40
        .size:           40
        .value_kind:     by_value
      - .offset:         80
        .size:           40
        .value_kind:     by_value
      - .offset:         120
        .size:           40
        .value_kind:     by_value
      - .offset:         160
        .size:           4
        .value_kind:     by_value
      - .offset:         164
        .size:           4
        .value_kind:     by_value
      - .offset:         168
        .size:           4
        .value_kind:     by_value
      - .offset:         172
        .size:           4
        .value_kind:     by_value
      - .offset:         176
        .size:           4
        .value_kind:     by_value
      - .offset:         180
        .size:           4
        .value_kind:     by_value
      - .offset:         184
        .size:           4
        .value_kind:     by_value
      - .offset:         188
        .size:           4
        .value_kind:     by_value
      - .offset:         192
        .size:           4
        .value_kind:     by_value
      - .offset:         196
        .size:           4
        .value_kind:     by_value
      - .offset:         200
        .size:           4
        .value_kind:     by_value
      - .offset:         204
        .size:           4
        .value_kind:     by_value
      - .offset:         208
        .size:           4
        .value_kind:     by_value
      - .offset:         212
        .size:           4
        .value_kind:     by_value
      - .offset:         216
        .size:           4
        .value_kind:     by_value
      - .offset:         220
        .size:           4
        .value_kind:     by_value
      - .offset:         224
        .size:           4
        .value_kind:     hidden_block_count_x
      - .offset:         228
        .size:           4
        .value_kind:     hidden_block_count_y
      - .offset:         232
        .size:           4
        .value_kind:     hidden_block_count_z
      - .offset:         236
        .size:           2
        .value_kind:     hidden_group_size_x
      - .offset:         238
        .size:           2
        .value_kind:     hidden_group_size_y
      - .offset:         240
        .size:           2
        .value_kind:     hidden_group_size_z
      - .offset:         242
        .size:           2
        .value_kind:     hidden_remainder_x
      - .offset:         244
        .size:           2
        .value_kind:     hidden_remainder_y
      - .offset:         246
        .size:           2
        .value_kind:     hidden_remainder_z
      - .offset:         264
        .size:           8
        .value_kind:     hidden_global_offset_x
      - .offset:         272
        .size:           8
        .value_kind:     hidden_global_offset_y
      - .offset:         280
        .size:           8
        .value_kind:     hidden_global_offset_z
      - .offset:         288
        .size:           2
        .value_kind:     hidden_grid_dims
    .group_segment_fixed_size: 0
    .kernarg_segment_align: 8
    .kernarg_segment_size: 480
    .language:       OpenCL C
    .language_version:
      - 2
      - 0
    .max_flat_workgroup_size: 1024
    .name:           naive_conv_ab_packed_fwd_nchw_float_double_float
    .private_segment_fixed_size: 0
    .sgpr_count:     64
    .sgpr_spill_count: 0
    .symbol:         naive_conv_ab_packed_fwd_nchw_float_double_float.kd
    .uniform_work_group_size: 1
    .uses_dynamic_stack: false
    .vgpr_count:     16
    .vgpr_spill_count: 0
    .wavefront_size: 64
  - .args:
      - .actual_access:  read_only
        .address_space:  global
        .offset:         0
        .size:           8
        .value_kind:     global_buffer
      - .actual_access:  read_only
        .address_space:  global
        .offset:         8
        .size:           8
        .value_kind:     global_buffer
      - .offset:         16
        .size:           8
        .value_kind:     by_value
      - .offset:         24
        .size:           8
        .value_kind:     by_value
      - .address_space:  global
        .offset:         32
        .size:           8
        .value_kind:     global_buffer
      - .offset:         40
        .size:           40
        .value_kind:     by_value
      - .offset:         80
        .size:           40
        .value_kind:     by_value
      - .offset:         120
        .size:           40
        .value_kind:     by_value
      - .offset:         160
        .size:           4
        .value_kind:     by_value
      - .offset:         164
        .size:           4
        .value_kind:     by_value
      - .offset:         168
        .size:           4
        .value_kind:     by_value
      - .offset:         172
        .size:           4
        .value_kind:     by_value
      - .offset:         176
        .size:           4
        .value_kind:     by_value
      - .offset:         180
        .size:           4
        .value_kind:     by_value
      - .offset:         184
        .size:           4
        .value_kind:     by_value
      - .offset:         188
        .size:           4
        .value_kind:     by_value
      - .offset:         192
        .size:           4
        .value_kind:     by_value
      - .offset:         196
        .size:           4
        .value_kind:     by_value
      - .offset:         200
        .size:           4
        .value_kind:     by_value
      - .offset:         204
        .size:           4
        .value_kind:     by_value
      - .offset:         208
        .size:           4
        .value_kind:     by_value
      - .offset:         212
        .size:           4
        .value_kind:     by_value
      - .offset:         216
        .size:           4
        .value_kind:     by_value
      - .offset:         220
        .size:           4
        .value_kind:     by_value
      - .offset:         224
        .size:           4
        .value_kind:     hidden_block_count_x
      - .offset:         228
        .size:           4
        .value_kind:     hidden_block_count_y
      - .offset:         232
        .size:           4
        .value_kind:     hidden_block_count_z
      - .offset:         236
        .size:           2
        .value_kind:     hidden_group_size_x
      - .offset:         238
        .size:           2
        .value_kind:     hidden_group_size_y
      - .offset:         240
        .size:           2
        .value_kind:     hidden_group_size_z
      - .offset:         242
        .size:           2
        .value_kind:     hidden_remainder_x
      - .offset:         244
        .size:           2
        .value_kind:     hidden_remainder_y
      - .offset:         246
        .size:           2
        .value_kind:     hidden_remainder_z
      - .offset:         264
        .size:           8
        .value_kind:     hidden_global_offset_x
      - .offset:         272
        .size:           8
        .value_kind:     hidden_global_offset_y
      - .offset:         280
        .size:           8
        .value_kind:     hidden_global_offset_z
      - .offset:         288
        .size:           2
        .value_kind:     hidden_grid_dims
    .group_segment_fixed_size: 0
    .kernarg_segment_align: 8
    .kernarg_segment_size: 480
    .language:       OpenCL C
    .language_version:
      - 2
      - 0
    .max_flat_workgroup_size: 1024
    .name:           naive_conv_ab_nonpacked_fwd_nchw_float_double_float
    .private_segment_fixed_size: 0
    .sgpr_count:     74
    .sgpr_spill_count: 0
    .symbol:         naive_conv_ab_nonpacked_fwd_nchw_float_double_float.kd
    .uniform_work_group_size: 1
    .uses_dynamic_stack: false
    .vgpr_count:     15
    .vgpr_spill_count: 0
    .wavefront_size: 64
  - .args:
      - .actual_access:  read_only
        .address_space:  global
        .offset:         0
        .size:           8
        .value_kind:     global_buffer
      - .actual_access:  read_only
        .address_space:  global
        .offset:         8
        .size:           8
        .value_kind:     global_buffer
      - .offset:         16
        .size:           8
        .value_kind:     by_value
      - .offset:         24
        .size:           8
        .value_kind:     by_value
      - .address_space:  global
        .offset:         32
        .size:           8
        .value_kind:     global_buffer
      - .offset:         40
        .size:           40
        .value_kind:     by_value
      - .offset:         80
        .size:           40
        .value_kind:     by_value
      - .offset:         120
        .size:           40
        .value_kind:     by_value
      - .offset:         160
        .size:           4
        .value_kind:     by_value
      - .offset:         164
        .size:           4
        .value_kind:     by_value
      - .offset:         168
        .size:           4
        .value_kind:     by_value
      - .offset:         172
        .size:           4
        .value_kind:     by_value
      - .offset:         176
        .size:           4
        .value_kind:     by_value
      - .offset:         180
        .size:           4
        .value_kind:     by_value
      - .offset:         184
        .size:           4
        .value_kind:     by_value
      - .offset:         188
        .size:           4
        .value_kind:     by_value
      - .offset:         192
        .size:           4
        .value_kind:     by_value
      - .offset:         196
        .size:           4
        .value_kind:     by_value
      - .offset:         200
        .size:           4
        .value_kind:     by_value
      - .offset:         204
        .size:           4
        .value_kind:     by_value
      - .offset:         208
        .size:           4
        .value_kind:     by_value
      - .offset:         212
        .size:           4
        .value_kind:     by_value
      - .offset:         216
        .size:           4
        .value_kind:     by_value
      - .offset:         220
        .size:           4
        .value_kind:     by_value
      - .offset:         224
        .size:           4
        .value_kind:     hidden_block_count_x
      - .offset:         228
        .size:           4
        .value_kind:     hidden_block_count_y
      - .offset:         232
        .size:           4
        .value_kind:     hidden_block_count_z
      - .offset:         236
        .size:           2
        .value_kind:     hidden_group_size_x
      - .offset:         238
        .size:           2
        .value_kind:     hidden_group_size_y
      - .offset:         240
        .size:           2
        .value_kind:     hidden_group_size_z
      - .offset:         242
        .size:           2
        .value_kind:     hidden_remainder_x
      - .offset:         244
        .size:           2
        .value_kind:     hidden_remainder_y
      - .offset:         246
        .size:           2
        .value_kind:     hidden_remainder_z
      - .offset:         264
        .size:           8
        .value_kind:     hidden_global_offset_x
      - .offset:         272
        .size:           8
        .value_kind:     hidden_global_offset_y
      - .offset:         280
        .size:           8
        .value_kind:     hidden_global_offset_z
      - .offset:         288
        .size:           2
        .value_kind:     hidden_grid_dims
    .group_segment_fixed_size: 0
    .kernarg_segment_align: 8
    .kernarg_segment_size: 480
    .language:       OpenCL C
    .language_version:
      - 2
      - 0
    .max_flat_workgroup_size: 1024
    .name:           naive_conv_ab_packed_fwd_nchw_half_double_half
    .private_segment_fixed_size: 0
    .sgpr_count:     68
    .sgpr_spill_count: 0
    .symbol:         naive_conv_ab_packed_fwd_nchw_half_double_half.kd
    .uniform_work_group_size: 1
    .uses_dynamic_stack: false
    .vgpr_count:     18
    .vgpr_spill_count: 0
    .wavefront_size: 64
  - .args:
      - .actual_access:  read_only
        .address_space:  global
        .offset:         0
        .size:           8
        .value_kind:     global_buffer
      - .actual_access:  read_only
        .address_space:  global
        .offset:         8
        .size:           8
        .value_kind:     global_buffer
      - .offset:         16
        .size:           8
        .value_kind:     by_value
      - .offset:         24
        .size:           8
        .value_kind:     by_value
      - .address_space:  global
        .offset:         32
        .size:           8
        .value_kind:     global_buffer
      - .offset:         40
        .size:           40
        .value_kind:     by_value
      - .offset:         80
        .size:           40
        .value_kind:     by_value
      - .offset:         120
        .size:           40
        .value_kind:     by_value
      - .offset:         160
        .size:           4
        .value_kind:     by_value
      - .offset:         164
        .size:           4
        .value_kind:     by_value
      - .offset:         168
        .size:           4
        .value_kind:     by_value
      - .offset:         172
        .size:           4
        .value_kind:     by_value
      - .offset:         176
        .size:           4
        .value_kind:     by_value
      - .offset:         180
        .size:           4
        .value_kind:     by_value
      - .offset:         184
        .size:           4
        .value_kind:     by_value
      - .offset:         188
        .size:           4
        .value_kind:     by_value
      - .offset:         192
        .size:           4
        .value_kind:     by_value
      - .offset:         196
        .size:           4
        .value_kind:     by_value
      - .offset:         200
        .size:           4
        .value_kind:     by_value
      - .offset:         204
        .size:           4
        .value_kind:     by_value
      - .offset:         208
        .size:           4
        .value_kind:     by_value
      - .offset:         212
        .size:           4
        .value_kind:     by_value
      - .offset:         216
        .size:           4
        .value_kind:     by_value
      - .offset:         220
        .size:           4
        .value_kind:     by_value
      - .offset:         224
        .size:           4
        .value_kind:     hidden_block_count_x
      - .offset:         228
        .size:           4
        .value_kind:     hidden_block_count_y
      - .offset:         232
        .size:           4
        .value_kind:     hidden_block_count_z
      - .offset:         236
        .size:           2
        .value_kind:     hidden_group_size_x
      - .offset:         238
        .size:           2
        .value_kind:     hidden_group_size_y
      - .offset:         240
        .size:           2
        .value_kind:     hidden_group_size_z
      - .offset:         242
        .size:           2
        .value_kind:     hidden_remainder_x
      - .offset:         244
        .size:           2
        .value_kind:     hidden_remainder_y
      - .offset:         246
        .size:           2
        .value_kind:     hidden_remainder_z
      - .offset:         264
        .size:           8
        .value_kind:     hidden_global_offset_x
      - .offset:         272
        .size:           8
        .value_kind:     hidden_global_offset_y
      - .offset:         280
        .size:           8
        .value_kind:     hidden_global_offset_z
      - .offset:         288
        .size:           2
        .value_kind:     hidden_grid_dims
    .group_segment_fixed_size: 0
    .kernarg_segment_align: 8
    .kernarg_segment_size: 480
    .language:       OpenCL C
    .language_version:
      - 2
      - 0
    .max_flat_workgroup_size: 1024
    .name:           naive_conv_ab_nonpacked_fwd_nchw_half_double_half
    .private_segment_fixed_size: 0
    .sgpr_count:     78
    .sgpr_spill_count: 0
    .symbol:         naive_conv_ab_nonpacked_fwd_nchw_half_double_half.kd
    .uniform_work_group_size: 1
    .uses_dynamic_stack: false
    .vgpr_count:     18
    .vgpr_spill_count: 0
    .wavefront_size: 64
  - .args:
      - .actual_access:  read_only
        .address_space:  global
        .offset:         0
        .size:           8
        .value_kind:     global_buffer
      - .actual_access:  read_only
        .address_space:  global
        .offset:         8
        .size:           8
        .value_kind:     global_buffer
      - .offset:         16
        .size:           8
        .value_kind:     by_value
      - .offset:         24
        .size:           8
        .value_kind:     by_value
      - .address_space:  global
        .offset:         32
        .size:           8
        .value_kind:     global_buffer
      - .offset:         40
        .size:           40
        .value_kind:     by_value
      - .offset:         80
        .size:           40
        .value_kind:     by_value
      - .offset:         120
        .size:           40
        .value_kind:     by_value
      - .offset:         160
        .size:           4
        .value_kind:     by_value
      - .offset:         164
        .size:           4
        .value_kind:     by_value
      - .offset:         168
        .size:           4
        .value_kind:     by_value
      - .offset:         172
        .size:           4
        .value_kind:     by_value
      - .offset:         176
        .size:           4
        .value_kind:     by_value
      - .offset:         180
        .size:           4
        .value_kind:     by_value
      - .offset:         184
        .size:           4
        .value_kind:     by_value
      - .offset:         188
        .size:           4
        .value_kind:     by_value
      - .offset:         192
        .size:           4
        .value_kind:     by_value
      - .offset:         196
        .size:           4
        .value_kind:     by_value
      - .offset:         200
        .size:           4
        .value_kind:     by_value
      - .offset:         204
        .size:           4
        .value_kind:     by_value
      - .offset:         208
        .size:           4
        .value_kind:     by_value
      - .offset:         212
        .size:           4
        .value_kind:     by_value
      - .offset:         216
        .size:           4
        .value_kind:     by_value
      - .offset:         220
        .size:           4
        .value_kind:     by_value
      - .offset:         224
        .size:           4
        .value_kind:     hidden_block_count_x
      - .offset:         228
        .size:           4
        .value_kind:     hidden_block_count_y
      - .offset:         232
        .size:           4
        .value_kind:     hidden_block_count_z
      - .offset:         236
        .size:           2
        .value_kind:     hidden_group_size_x
      - .offset:         238
        .size:           2
        .value_kind:     hidden_group_size_y
      - .offset:         240
        .size:           2
        .value_kind:     hidden_group_size_z
      - .offset:         242
        .size:           2
        .value_kind:     hidden_remainder_x
      - .offset:         244
        .size:           2
        .value_kind:     hidden_remainder_y
      - .offset:         246
        .size:           2
        .value_kind:     hidden_remainder_z
      - .offset:         264
        .size:           8
        .value_kind:     hidden_global_offset_x
      - .offset:         272
        .size:           8
        .value_kind:     hidden_global_offset_y
      - .offset:         280
        .size:           8
        .value_kind:     hidden_global_offset_z
      - .offset:         288
        .size:           2
        .value_kind:     hidden_grid_dims
    .group_segment_fixed_size: 0
    .kernarg_segment_align: 8
    .kernarg_segment_size: 480
    .language:       OpenCL C
    .language_version:
      - 2
      - 0
    .max_flat_workgroup_size: 1024
    .name:           naive_conv_ab_packed_fwd_nchw_ushort_double_ushort
    .private_segment_fixed_size: 0
    .sgpr_count:     66
    .sgpr_spill_count: 0
    .symbol:         naive_conv_ab_packed_fwd_nchw_ushort_double_ushort.kd
    .uniform_work_group_size: 1
    .uses_dynamic_stack: false
    .vgpr_count:     16
    .vgpr_spill_count: 0
    .wavefront_size: 64
  - .args:
      - .actual_access:  read_only
        .address_space:  global
        .offset:         0
        .size:           8
        .value_kind:     global_buffer
      - .actual_access:  read_only
        .address_space:  global
        .offset:         8
        .size:           8
        .value_kind:     global_buffer
      - .offset:         16
        .size:           8
        .value_kind:     by_value
      - .offset:         24
        .size:           8
        .value_kind:     by_value
      - .address_space:  global
        .offset:         32
        .size:           8
        .value_kind:     global_buffer
      - .offset:         40
        .size:           40
        .value_kind:     by_value
      - .offset:         80
        .size:           40
        .value_kind:     by_value
      - .offset:         120
        .size:           40
        .value_kind:     by_value
      - .offset:         160
        .size:           4
        .value_kind:     by_value
      - .offset:         164
        .size:           4
        .value_kind:     by_value
      - .offset:         168
        .size:           4
        .value_kind:     by_value
      - .offset:         172
        .size:           4
        .value_kind:     by_value
      - .offset:         176
        .size:           4
        .value_kind:     by_value
      - .offset:         180
        .size:           4
        .value_kind:     by_value
      - .offset:         184
        .size:           4
        .value_kind:     by_value
      - .offset:         188
        .size:           4
        .value_kind:     by_value
      - .offset:         192
        .size:           4
        .value_kind:     by_value
      - .offset:         196
        .size:           4
        .value_kind:     by_value
      - .offset:         200
        .size:           4
        .value_kind:     by_value
      - .offset:         204
        .size:           4
        .value_kind:     by_value
      - .offset:         208
        .size:           4
        .value_kind:     by_value
      - .offset:         212
        .size:           4
        .value_kind:     by_value
      - .offset:         216
        .size:           4
        .value_kind:     by_value
      - .offset:         220
        .size:           4
        .value_kind:     by_value
      - .offset:         224
        .size:           4
        .value_kind:     hidden_block_count_x
      - .offset:         228
        .size:           4
        .value_kind:     hidden_block_count_y
      - .offset:         232
        .size:           4
        .value_kind:     hidden_block_count_z
      - .offset:         236
        .size:           2
        .value_kind:     hidden_group_size_x
      - .offset:         238
        .size:           2
        .value_kind:     hidden_group_size_y
      - .offset:         240
        .size:           2
        .value_kind:     hidden_group_size_z
      - .offset:         242
        .size:           2
        .value_kind:     hidden_remainder_x
      - .offset:         244
        .size:           2
        .value_kind:     hidden_remainder_y
      - .offset:         246
        .size:           2
        .value_kind:     hidden_remainder_z
      - .offset:         264
        .size:           8
        .value_kind:     hidden_global_offset_x
      - .offset:         272
        .size:           8
        .value_kind:     hidden_global_offset_y
      - .offset:         280
        .size:           8
        .value_kind:     hidden_global_offset_z
      - .offset:         288
        .size:           2
        .value_kind:     hidden_grid_dims
    .group_segment_fixed_size: 0
    .kernarg_segment_align: 8
    .kernarg_segment_size: 480
    .language:       OpenCL C
    .language_version:
      - 2
      - 0
    .max_flat_workgroup_size: 1024
    .name:           naive_conv_ab_nonpacked_fwd_nchw_ushort_double_ushort
    .private_segment_fixed_size: 0
    .sgpr_count:     76
    .sgpr_spill_count: 0
    .symbol:         naive_conv_ab_nonpacked_fwd_nchw_ushort_double_ushort.kd
    .uniform_work_group_size: 1
    .uses_dynamic_stack: false
    .vgpr_count:     16
    .vgpr_spill_count: 0
    .wavefront_size: 64
  - .args:
      - .actual_access:  read_only
        .address_space:  global
        .offset:         0
        .size:           8
        .value_kind:     global_buffer
      - .actual_access:  read_only
        .address_space:  global
        .offset:         8
        .size:           8
        .value_kind:     global_buffer
      - .offset:         16
        .size:           8
        .value_kind:     by_value
      - .offset:         24
        .size:           8
        .value_kind:     by_value
      - .address_space:  global
        .offset:         32
        .size:           8
        .value_kind:     global_buffer
      - .offset:         40
        .size:           40
        .value_kind:     by_value
      - .offset:         80
        .size:           40
        .value_kind:     by_value
      - .offset:         120
        .size:           40
        .value_kind:     by_value
      - .offset:         160
        .size:           4
        .value_kind:     by_value
      - .offset:         164
        .size:           4
        .value_kind:     by_value
      - .offset:         168
        .size:           4
        .value_kind:     by_value
      - .offset:         172
        .size:           4
        .value_kind:     by_value
      - .offset:         176
        .size:           4
        .value_kind:     by_value
      - .offset:         180
        .size:           4
        .value_kind:     by_value
      - .offset:         184
        .size:           4
        .value_kind:     by_value
      - .offset:         188
        .size:           4
        .value_kind:     by_value
      - .offset:         192
        .size:           4
        .value_kind:     by_value
      - .offset:         196
        .size:           4
        .value_kind:     by_value
      - .offset:         200
        .size:           4
        .value_kind:     by_value
      - .offset:         204
        .size:           4
        .value_kind:     by_value
      - .offset:         208
        .size:           4
        .value_kind:     by_value
      - .offset:         212
        .size:           4
        .value_kind:     by_value
      - .offset:         216
        .size:           4
        .value_kind:     by_value
      - .offset:         220
        .size:           4
        .value_kind:     by_value
      - .offset:         224
        .size:           4
        .value_kind:     hidden_block_count_x
      - .offset:         228
        .size:           4
        .value_kind:     hidden_block_count_y
      - .offset:         232
        .size:           4
        .value_kind:     hidden_block_count_z
      - .offset:         236
        .size:           2
        .value_kind:     hidden_group_size_x
      - .offset:         238
        .size:           2
        .value_kind:     hidden_group_size_y
      - .offset:         240
        .size:           2
        .value_kind:     hidden_group_size_z
      - .offset:         242
        .size:           2
        .value_kind:     hidden_remainder_x
      - .offset:         244
        .size:           2
        .value_kind:     hidden_remainder_y
      - .offset:         246
        .size:           2
        .value_kind:     hidden_remainder_z
      - .offset:         264
        .size:           8
        .value_kind:     hidden_global_offset_x
      - .offset:         272
        .size:           8
        .value_kind:     hidden_global_offset_y
      - .offset:         280
        .size:           8
        .value_kind:     hidden_global_offset_z
      - .offset:         288
        .size:           2
        .value_kind:     hidden_grid_dims
    .group_segment_fixed_size: 0
    .kernarg_segment_align: 8
    .kernarg_segment_size: 480
    .language:       OpenCL C
    .language_version:
      - 2
      - 0
    .max_flat_workgroup_size: 1024
    .name:           naive_conv_ab_packed_fwd_nchw_int8_t_int32_t_int8_t
    .private_segment_fixed_size: 0
    .sgpr_count:     60
    .sgpr_spill_count: 0
    .symbol:         naive_conv_ab_packed_fwd_nchw_int8_t_int32_t_int8_t.kd
    .uniform_work_group_size: 1
    .uses_dynamic_stack: false
    .vgpr_count:     16
    .vgpr_spill_count: 0
    .wavefront_size: 64
  - .args:
      - .actual_access:  read_only
        .address_space:  global
        .offset:         0
        .size:           8
        .value_kind:     global_buffer
      - .actual_access:  read_only
        .address_space:  global
        .offset:         8
        .size:           8
        .value_kind:     global_buffer
      - .offset:         16
        .size:           8
        .value_kind:     by_value
      - .offset:         24
        .size:           8
        .value_kind:     by_value
      - .address_space:  global
        .offset:         32
        .size:           8
        .value_kind:     global_buffer
      - .offset:         40
        .size:           40
        .value_kind:     by_value
      - .offset:         80
        .size:           40
        .value_kind:     by_value
      - .offset:         120
        .size:           40
        .value_kind:     by_value
      - .offset:         160
        .size:           4
        .value_kind:     by_value
      - .offset:         164
        .size:           4
        .value_kind:     by_value
      - .offset:         168
        .size:           4
        .value_kind:     by_value
      - .offset:         172
        .size:           4
        .value_kind:     by_value
      - .offset:         176
        .size:           4
        .value_kind:     by_value
      - .offset:         180
        .size:           4
        .value_kind:     by_value
      - .offset:         184
        .size:           4
        .value_kind:     by_value
      - .offset:         188
        .size:           4
        .value_kind:     by_value
      - .offset:         192
        .size:           4
        .value_kind:     by_value
      - .offset:         196
        .size:           4
        .value_kind:     by_value
      - .offset:         200
        .size:           4
        .value_kind:     by_value
      - .offset:         204
        .size:           4
        .value_kind:     by_value
      - .offset:         208
        .size:           4
        .value_kind:     by_value
      - .offset:         212
        .size:           4
        .value_kind:     by_value
      - .offset:         216
        .size:           4
        .value_kind:     by_value
      - .offset:         220
        .size:           4
        .value_kind:     by_value
      - .offset:         224
        .size:           4
        .value_kind:     hidden_block_count_x
      - .offset:         228
        .size:           4
        .value_kind:     hidden_block_count_y
      - .offset:         232
        .size:           4
        .value_kind:     hidden_block_count_z
      - .offset:         236
        .size:           2
        .value_kind:     hidden_group_size_x
      - .offset:         238
        .size:           2
        .value_kind:     hidden_group_size_y
      - .offset:         240
        .size:           2
        .value_kind:     hidden_group_size_z
      - .offset:         242
        .size:           2
        .value_kind:     hidden_remainder_x
      - .offset:         244
        .size:           2
        .value_kind:     hidden_remainder_y
      - .offset:         246
        .size:           2
        .value_kind:     hidden_remainder_z
      - .offset:         264
        .size:           8
        .value_kind:     hidden_global_offset_x
      - .offset:         272
        .size:           8
        .value_kind:     hidden_global_offset_y
      - .offset:         280
        .size:           8
        .value_kind:     hidden_global_offset_z
      - .offset:         288
        .size:           2
        .value_kind:     hidden_grid_dims
    .group_segment_fixed_size: 0
    .kernarg_segment_align: 8
    .kernarg_segment_size: 480
    .language:       OpenCL C
    .language_version:
      - 2
      - 0
    .max_flat_workgroup_size: 1024
    .name:           naive_conv_ab_nonpacked_fwd_nchw_int8_t_int32_t_int8_t
    .private_segment_fixed_size: 0
    .sgpr_count:     70
    .sgpr_spill_count: 0
    .symbol:         naive_conv_ab_nonpacked_fwd_nchw_int8_t_int32_t_int8_t.kd
    .uniform_work_group_size: 1
    .uses_dynamic_stack: false
    .vgpr_count:     16
    .vgpr_spill_count: 0
    .wavefront_size: 64
  - .args:
      - .actual_access:  read_only
        .address_space:  global
        .offset:         0
        .size:           8
        .value_kind:     global_buffer
      - .actual_access:  read_only
        .address_space:  global
        .offset:         8
        .size:           8
        .value_kind:     global_buffer
      - .offset:         16
        .size:           8
        .value_kind:     by_value
      - .offset:         24
        .size:           8
        .value_kind:     by_value
      - .address_space:  global
        .offset:         32
        .size:           8
        .value_kind:     global_buffer
      - .offset:         40
        .size:           40
        .value_kind:     by_value
      - .offset:         80
        .size:           40
        .value_kind:     by_value
      - .offset:         120
        .size:           40
        .value_kind:     by_value
      - .offset:         160
        .size:           4
        .value_kind:     by_value
      - .offset:         164
        .size:           4
        .value_kind:     by_value
      - .offset:         168
        .size:           4
        .value_kind:     by_value
      - .offset:         172
        .size:           4
        .value_kind:     by_value
      - .offset:         176
        .size:           4
        .value_kind:     by_value
      - .offset:         180
        .size:           4
        .value_kind:     by_value
      - .offset:         184
        .size:           4
        .value_kind:     by_value
      - .offset:         188
        .size:           4
        .value_kind:     by_value
      - .offset:         192
        .size:           4
        .value_kind:     by_value
      - .offset:         196
        .size:           4
        .value_kind:     by_value
      - .offset:         200
        .size:           4
        .value_kind:     by_value
      - .offset:         204
        .size:           4
        .value_kind:     by_value
      - .offset:         208
        .size:           4
        .value_kind:     by_value
      - .offset:         212
        .size:           4
        .value_kind:     by_value
      - .offset:         216
        .size:           4
        .value_kind:     by_value
      - .offset:         220
        .size:           4
        .value_kind:     by_value
      - .offset:         224
        .size:           4
        .value_kind:     hidden_block_count_x
      - .offset:         228
        .size:           4
        .value_kind:     hidden_block_count_y
      - .offset:         232
        .size:           4
        .value_kind:     hidden_block_count_z
      - .offset:         236
        .size:           2
        .value_kind:     hidden_group_size_x
      - .offset:         238
        .size:           2
        .value_kind:     hidden_group_size_y
      - .offset:         240
        .size:           2
        .value_kind:     hidden_group_size_z
      - .offset:         242
        .size:           2
        .value_kind:     hidden_remainder_x
      - .offset:         244
        .size:           2
        .value_kind:     hidden_remainder_y
      - .offset:         246
        .size:           2
        .value_kind:     hidden_remainder_z
      - .offset:         264
        .size:           8
        .value_kind:     hidden_global_offset_x
      - .offset:         272
        .size:           8
        .value_kind:     hidden_global_offset_y
      - .offset:         280
        .size:           8
        .value_kind:     hidden_global_offset_z
      - .offset:         288
        .size:           2
        .value_kind:     hidden_grid_dims
    .group_segment_fixed_size: 0
    .kernarg_segment_align: 8
    .kernarg_segment_size: 480
    .language:       OpenCL C
    .language_version:
      - 2
      - 0
    .max_flat_workgroup_size: 1024
    .name:           naive_conv_ab_packed_fwd_nchw_int8_t_int32_t_int32_t
    .private_segment_fixed_size: 0
    .sgpr_count:     60
    .sgpr_spill_count: 0
    .symbol:         naive_conv_ab_packed_fwd_nchw_int8_t_int32_t_int32_t.kd
    .uniform_work_group_size: 1
    .uses_dynamic_stack: false
    .vgpr_count:     16
    .vgpr_spill_count: 0
    .wavefront_size: 64
  - .args:
      - .actual_access:  read_only
        .address_space:  global
        .offset:         0
        .size:           8
        .value_kind:     global_buffer
      - .actual_access:  read_only
        .address_space:  global
        .offset:         8
        .size:           8
        .value_kind:     global_buffer
      - .offset:         16
        .size:           8
        .value_kind:     by_value
      - .offset:         24
        .size:           8
        .value_kind:     by_value
      - .address_space:  global
        .offset:         32
        .size:           8
        .value_kind:     global_buffer
      - .offset:         40
        .size:           40
        .value_kind:     by_value
      - .offset:         80
        .size:           40
        .value_kind:     by_value
      - .offset:         120
        .size:           40
        .value_kind:     by_value
      - .offset:         160
        .size:           4
        .value_kind:     by_value
      - .offset:         164
        .size:           4
        .value_kind:     by_value
      - .offset:         168
        .size:           4
        .value_kind:     by_value
      - .offset:         172
        .size:           4
        .value_kind:     by_value
      - .offset:         176
        .size:           4
        .value_kind:     by_value
      - .offset:         180
        .size:           4
        .value_kind:     by_value
      - .offset:         184
        .size:           4
        .value_kind:     by_value
      - .offset:         188
        .size:           4
        .value_kind:     by_value
      - .offset:         192
        .size:           4
        .value_kind:     by_value
      - .offset:         196
        .size:           4
        .value_kind:     by_value
      - .offset:         200
        .size:           4
        .value_kind:     by_value
      - .offset:         204
        .size:           4
        .value_kind:     by_value
      - .offset:         208
        .size:           4
        .value_kind:     by_value
      - .offset:         212
        .size:           4
        .value_kind:     by_value
      - .offset:         216
        .size:           4
        .value_kind:     by_value
      - .offset:         220
        .size:           4
        .value_kind:     by_value
      - .offset:         224
        .size:           4
        .value_kind:     hidden_block_count_x
      - .offset:         228
        .size:           4
        .value_kind:     hidden_block_count_y
      - .offset:         232
        .size:           4
        .value_kind:     hidden_block_count_z
      - .offset:         236
        .size:           2
        .value_kind:     hidden_group_size_x
      - .offset:         238
        .size:           2
        .value_kind:     hidden_group_size_y
      - .offset:         240
        .size:           2
        .value_kind:     hidden_group_size_z
      - .offset:         242
        .size:           2
        .value_kind:     hidden_remainder_x
      - .offset:         244
        .size:           2
        .value_kind:     hidden_remainder_y
      - .offset:         246
        .size:           2
        .value_kind:     hidden_remainder_z
      - .offset:         264
        .size:           8
        .value_kind:     hidden_global_offset_x
      - .offset:         272
        .size:           8
        .value_kind:     hidden_global_offset_y
      - .offset:         280
        .size:           8
        .value_kind:     hidden_global_offset_z
      - .offset:         288
        .size:           2
        .value_kind:     hidden_grid_dims
    .group_segment_fixed_size: 0
    .kernarg_segment_align: 8
    .kernarg_segment_size: 480
    .language:       OpenCL C
    .language_version:
      - 2
      - 0
    .max_flat_workgroup_size: 1024
    .name:           naive_conv_ab_nonpacked_fwd_nchw_int8_t_int32_t_int32_t
    .private_segment_fixed_size: 0
    .sgpr_count:     72
    .sgpr_spill_count: 0
    .symbol:         naive_conv_ab_nonpacked_fwd_nchw_int8_t_int32_t_int32_t.kd
    .uniform_work_group_size: 1
    .uses_dynamic_stack: false
    .vgpr_count:     16
    .vgpr_spill_count: 0
    .wavefront_size: 64
  - .args:
      - .actual_access:  read_only
        .address_space:  global
        .offset:         0
        .size:           8
        .value_kind:     global_buffer
      - .actual_access:  read_only
        .address_space:  global
        .offset:         8
        .size:           8
        .value_kind:     global_buffer
      - .offset:         16
        .size:           8
        .value_kind:     by_value
      - .offset:         24
        .size:           8
        .value_kind:     by_value
      - .address_space:  global
        .offset:         32
        .size:           8
        .value_kind:     global_buffer
      - .offset:         40
        .size:           40
        .value_kind:     by_value
      - .offset:         80
        .size:           40
        .value_kind:     by_value
      - .offset:         120
        .size:           40
        .value_kind:     by_value
      - .offset:         160
        .size:           4
        .value_kind:     by_value
      - .offset:         164
        .size:           4
        .value_kind:     by_value
      - .offset:         168
        .size:           4
        .value_kind:     by_value
      - .offset:         172
        .size:           4
        .value_kind:     by_value
      - .offset:         176
        .size:           4
        .value_kind:     by_value
      - .offset:         180
        .size:           4
        .value_kind:     by_value
      - .offset:         184
        .size:           4
        .value_kind:     by_value
      - .offset:         188
        .size:           4
        .value_kind:     by_value
      - .offset:         192
        .size:           4
        .value_kind:     by_value
      - .offset:         196
        .size:           4
        .value_kind:     by_value
      - .offset:         200
        .size:           4
        .value_kind:     by_value
      - .offset:         204
        .size:           4
        .value_kind:     by_value
      - .offset:         208
        .size:           4
        .value_kind:     by_value
      - .offset:         212
        .size:           4
        .value_kind:     by_value
      - .offset:         216
        .size:           4
        .value_kind:     by_value
      - .offset:         220
        .size:           4
        .value_kind:     by_value
      - .offset:         224
        .size:           4
        .value_kind:     hidden_block_count_x
      - .offset:         228
        .size:           4
        .value_kind:     hidden_block_count_y
      - .offset:         232
        .size:           4
        .value_kind:     hidden_block_count_z
      - .offset:         236
        .size:           2
        .value_kind:     hidden_group_size_x
      - .offset:         238
        .size:           2
        .value_kind:     hidden_group_size_y
      - .offset:         240
        .size:           2
        .value_kind:     hidden_group_size_z
      - .offset:         242
        .size:           2
        .value_kind:     hidden_remainder_x
      - .offset:         244
        .size:           2
        .value_kind:     hidden_remainder_y
      - .offset:         246
        .size:           2
        .value_kind:     hidden_remainder_z
      - .offset:         264
        .size:           8
        .value_kind:     hidden_global_offset_x
      - .offset:         272
        .size:           8
        .value_kind:     hidden_global_offset_y
      - .offset:         280
        .size:           8
        .value_kind:     hidden_global_offset_z
      - .offset:         288
        .size:           2
        .value_kind:     hidden_grid_dims
    .group_segment_fixed_size: 0
    .kernarg_segment_align: 8
    .kernarg_segment_size: 480
    .language:       OpenCL C
    .language_version:
      - 2
      - 0
    .max_flat_workgroup_size: 1024
    .name:           naive_conv_ab_packed_fwd_nchw_int8_t_int32_t_float
    .private_segment_fixed_size: 0
    .sgpr_count:     60
    .sgpr_spill_count: 0
    .symbol:         naive_conv_ab_packed_fwd_nchw_int8_t_int32_t_float.kd
    .uniform_work_group_size: 1
    .uses_dynamic_stack: false
    .vgpr_count:     16
    .vgpr_spill_count: 0
    .wavefront_size: 64
  - .args:
      - .actual_access:  read_only
        .address_space:  global
        .offset:         0
        .size:           8
        .value_kind:     global_buffer
      - .actual_access:  read_only
        .address_space:  global
        .offset:         8
        .size:           8
        .value_kind:     global_buffer
      - .offset:         16
        .size:           8
        .value_kind:     by_value
      - .offset:         24
        .size:           8
        .value_kind:     by_value
      - .address_space:  global
        .offset:         32
        .size:           8
        .value_kind:     global_buffer
      - .offset:         40
        .size:           40
        .value_kind:     by_value
      - .offset:         80
        .size:           40
        .value_kind:     by_value
      - .offset:         120
        .size:           40
        .value_kind:     by_value
      - .offset:         160
        .size:           4
        .value_kind:     by_value
      - .offset:         164
        .size:           4
        .value_kind:     by_value
      - .offset:         168
        .size:           4
        .value_kind:     by_value
      - .offset:         172
        .size:           4
        .value_kind:     by_value
      - .offset:         176
        .size:           4
        .value_kind:     by_value
      - .offset:         180
        .size:           4
        .value_kind:     by_value
      - .offset:         184
        .size:           4
        .value_kind:     by_value
      - .offset:         188
        .size:           4
        .value_kind:     by_value
      - .offset:         192
        .size:           4
        .value_kind:     by_value
      - .offset:         196
        .size:           4
        .value_kind:     by_value
      - .offset:         200
        .size:           4
        .value_kind:     by_value
      - .offset:         204
        .size:           4
        .value_kind:     by_value
      - .offset:         208
        .size:           4
        .value_kind:     by_value
      - .offset:         212
        .size:           4
        .value_kind:     by_value
      - .offset:         216
        .size:           4
        .value_kind:     by_value
      - .offset:         220
        .size:           4
        .value_kind:     by_value
      - .offset:         224
        .size:           4
        .value_kind:     hidden_block_count_x
      - .offset:         228
        .size:           4
        .value_kind:     hidden_block_count_y
      - .offset:         232
        .size:           4
        .value_kind:     hidden_block_count_z
      - .offset:         236
        .size:           2
        .value_kind:     hidden_group_size_x
      - .offset:         238
        .size:           2
        .value_kind:     hidden_group_size_y
      - .offset:         240
        .size:           2
        .value_kind:     hidden_group_size_z
      - .offset:         242
        .size:           2
        .value_kind:     hidden_remainder_x
      - .offset:         244
        .size:           2
        .value_kind:     hidden_remainder_y
      - .offset:         246
        .size:           2
        .value_kind:     hidden_remainder_z
      - .offset:         264
        .size:           8
        .value_kind:     hidden_global_offset_x
      - .offset:         272
        .size:           8
        .value_kind:     hidden_global_offset_y
      - .offset:         280
        .size:           8
        .value_kind:     hidden_global_offset_z
      - .offset:         288
        .size:           2
        .value_kind:     hidden_grid_dims
    .group_segment_fixed_size: 0
    .kernarg_segment_align: 8
    .kernarg_segment_size: 480
    .language:       OpenCL C
    .language_version:
      - 2
      - 0
    .max_flat_workgroup_size: 1024
    .name:           naive_conv_ab_nonpacked_fwd_nchw_int8_t_int32_t_float
    .private_segment_fixed_size: 0
    .sgpr_count:     72
    .sgpr_spill_count: 0
    .symbol:         naive_conv_ab_nonpacked_fwd_nchw_int8_t_int32_t_float.kd
    .uniform_work_group_size: 1
    .uses_dynamic_stack: false
    .vgpr_count:     16
    .vgpr_spill_count: 0
    .wavefront_size: 64
  - .args:
      - .actual_access:  read_only
        .address_space:  global
        .offset:         0
        .size:           8
        .value_kind:     global_buffer
      - .actual_access:  read_only
        .address_space:  global
        .offset:         8
        .size:           8
        .value_kind:     global_buffer
      - .offset:         16
        .size:           8
        .value_kind:     by_value
      - .offset:         24
        .size:           8
        .value_kind:     by_value
      - .address_space:  global
        .offset:         32
        .size:           8
        .value_kind:     global_buffer
      - .offset:         40
        .size:           40
        .value_kind:     by_value
      - .offset:         80
        .size:           40
        .value_kind:     by_value
      - .offset:         120
        .size:           40
        .value_kind:     by_value
      - .offset:         160
        .size:           4
        .value_kind:     by_value
      - .offset:         164
        .size:           4
        .value_kind:     by_value
      - .offset:         168
        .size:           4
        .value_kind:     by_value
      - .offset:         172
        .size:           4
        .value_kind:     by_value
      - .offset:         176
        .size:           4
        .value_kind:     by_value
      - .offset:         180
        .size:           4
        .value_kind:     by_value
      - .offset:         184
        .size:           4
        .value_kind:     by_value
      - .offset:         188
        .size:           4
        .value_kind:     by_value
      - .offset:         192
        .size:           4
        .value_kind:     by_value
      - .offset:         196
        .size:           4
        .value_kind:     by_value
      - .offset:         200
        .size:           4
        .value_kind:     by_value
      - .offset:         204
        .size:           4
        .value_kind:     by_value
      - .offset:         208
        .size:           4
        .value_kind:     by_value
      - .offset:         212
        .size:           4
        .value_kind:     by_value
      - .offset:         216
        .size:           4
        .value_kind:     by_value
      - .offset:         220
        .size:           4
        .value_kind:     by_value
      - .offset:         224
        .size:           4
        .value_kind:     hidden_block_count_x
      - .offset:         228
        .size:           4
        .value_kind:     hidden_block_count_y
      - .offset:         232
        .size:           4
        .value_kind:     hidden_block_count_z
      - .offset:         236
        .size:           2
        .value_kind:     hidden_group_size_x
      - .offset:         238
        .size:           2
        .value_kind:     hidden_group_size_y
      - .offset:         240
        .size:           2
        .value_kind:     hidden_group_size_z
      - .offset:         242
        .size:           2
        .value_kind:     hidden_remainder_x
      - .offset:         244
        .size:           2
        .value_kind:     hidden_remainder_y
      - .offset:         246
        .size:           2
        .value_kind:     hidden_remainder_z
      - .offset:         264
        .size:           8
        .value_kind:     hidden_global_offset_x
      - .offset:         272
        .size:           8
        .value_kind:     hidden_global_offset_y
      - .offset:         280
        .size:           8
        .value_kind:     hidden_global_offset_z
      - .offset:         288
        .size:           2
        .value_kind:     hidden_grid_dims
    .group_segment_fixed_size: 0
    .kernarg_segment_align: 8
    .kernarg_segment_size: 480
    .language:       OpenCL C
    .language_version:
      - 2
      - 0
    .max_flat_workgroup_size: 1024
    .name:           naive_conv_ab_packed_fwd_nhwc_float_double_float
    .private_segment_fixed_size: 0
    .sgpr_count:     67
    .sgpr_spill_count: 0
    .symbol:         naive_conv_ab_packed_fwd_nhwc_float_double_float.kd
    .uniform_work_group_size: 1
    .uses_dynamic_stack: false
    .vgpr_count:     26
    .vgpr_spill_count: 0
    .wavefront_size: 64
  - .args:
      - .actual_access:  read_only
        .address_space:  global
        .offset:         0
        .size:           8
        .value_kind:     global_buffer
      - .actual_access:  read_only
        .address_space:  global
        .offset:         8
        .size:           8
        .value_kind:     global_buffer
      - .offset:         16
        .size:           8
        .value_kind:     by_value
      - .offset:         24
        .size:           8
        .value_kind:     by_value
      - .address_space:  global
        .offset:         32
        .size:           8
        .value_kind:     global_buffer
      - .offset:         40
        .size:           40
        .value_kind:     by_value
      - .offset:         80
        .size:           40
        .value_kind:     by_value
      - .offset:         120
        .size:           40
        .value_kind:     by_value
      - .offset:         160
        .size:           4
        .value_kind:     by_value
      - .offset:         164
        .size:           4
        .value_kind:     by_value
      - .offset:         168
        .size:           4
        .value_kind:     by_value
      - .offset:         172
        .size:           4
        .value_kind:     by_value
      - .offset:         176
        .size:           4
        .value_kind:     by_value
      - .offset:         180
        .size:           4
        .value_kind:     by_value
      - .offset:         184
        .size:           4
        .value_kind:     by_value
      - .offset:         188
        .size:           4
        .value_kind:     by_value
      - .offset:         192
        .size:           4
        .value_kind:     by_value
      - .offset:         196
        .size:           4
        .value_kind:     by_value
      - .offset:         200
        .size:           4
        .value_kind:     by_value
      - .offset:         204
        .size:           4
        .value_kind:     by_value
      - .offset:         208
        .size:           4
        .value_kind:     by_value
      - .offset:         212
        .size:           4
        .value_kind:     by_value
      - .offset:         216
        .size:           4
        .value_kind:     by_value
      - .offset:         220
        .size:           4
        .value_kind:     by_value
      - .offset:         224
        .size:           4
        .value_kind:     hidden_block_count_x
      - .offset:         228
        .size:           4
        .value_kind:     hidden_block_count_y
      - .offset:         232
        .size:           4
        .value_kind:     hidden_block_count_z
      - .offset:         236
        .size:           2
        .value_kind:     hidden_group_size_x
      - .offset:         238
        .size:           2
        .value_kind:     hidden_group_size_y
      - .offset:         240
        .size:           2
        .value_kind:     hidden_group_size_z
      - .offset:         242
        .size:           2
        .value_kind:     hidden_remainder_x
      - .offset:         244
        .size:           2
        .value_kind:     hidden_remainder_y
      - .offset:         246
        .size:           2
        .value_kind:     hidden_remainder_z
      - .offset:         264
        .size:           8
        .value_kind:     hidden_global_offset_x
      - .offset:         272
        .size:           8
        .value_kind:     hidden_global_offset_y
      - .offset:         280
        .size:           8
        .value_kind:     hidden_global_offset_z
      - .offset:         288
        .size:           2
        .value_kind:     hidden_grid_dims
    .group_segment_fixed_size: 0
    .kernarg_segment_align: 8
    .kernarg_segment_size: 480
    .language:       OpenCL C
    .language_version:
      - 2
      - 0
    .max_flat_workgroup_size: 1024
    .name:           naive_conv_ab_nonpacked_fwd_nhwc_float_double_float
    .private_segment_fixed_size: 0
    .sgpr_count:     77
    .sgpr_spill_count: 0
    .symbol:         naive_conv_ab_nonpacked_fwd_nhwc_float_double_float.kd
    .uniform_work_group_size: 1
    .uses_dynamic_stack: false
    .vgpr_count:     28
    .vgpr_spill_count: 0
    .wavefront_size: 64
  - .args:
      - .actual_access:  read_only
        .address_space:  global
        .offset:         0
        .size:           8
        .value_kind:     global_buffer
      - .actual_access:  read_only
        .address_space:  global
        .offset:         8
        .size:           8
        .value_kind:     global_buffer
      - .offset:         16
        .size:           8
        .value_kind:     by_value
      - .offset:         24
        .size:           8
        .value_kind:     by_value
      - .address_space:  global
        .offset:         32
        .size:           8
        .value_kind:     global_buffer
      - .offset:         40
        .size:           40
        .value_kind:     by_value
      - .offset:         80
        .size:           40
        .value_kind:     by_value
      - .offset:         120
        .size:           40
        .value_kind:     by_value
      - .offset:         160
        .size:           4
        .value_kind:     by_value
      - .offset:         164
        .size:           4
        .value_kind:     by_value
      - .offset:         168
        .size:           4
        .value_kind:     by_value
      - .offset:         172
        .size:           4
        .value_kind:     by_value
      - .offset:         176
        .size:           4
        .value_kind:     by_value
      - .offset:         180
        .size:           4
        .value_kind:     by_value
      - .offset:         184
        .size:           4
        .value_kind:     by_value
      - .offset:         188
        .size:           4
        .value_kind:     by_value
      - .offset:         192
        .size:           4
        .value_kind:     by_value
      - .offset:         196
        .size:           4
        .value_kind:     by_value
      - .offset:         200
        .size:           4
        .value_kind:     by_value
      - .offset:         204
        .size:           4
        .value_kind:     by_value
      - .offset:         208
        .size:           4
        .value_kind:     by_value
      - .offset:         212
        .size:           4
        .value_kind:     by_value
      - .offset:         216
        .size:           4
        .value_kind:     by_value
      - .offset:         220
        .size:           4
        .value_kind:     by_value
      - .offset:         224
        .size:           4
        .value_kind:     hidden_block_count_x
      - .offset:         228
        .size:           4
        .value_kind:     hidden_block_count_y
      - .offset:         232
        .size:           4
        .value_kind:     hidden_block_count_z
      - .offset:         236
        .size:           2
        .value_kind:     hidden_group_size_x
      - .offset:         238
        .size:           2
        .value_kind:     hidden_group_size_y
      - .offset:         240
        .size:           2
        .value_kind:     hidden_group_size_z
      - .offset:         242
        .size:           2
        .value_kind:     hidden_remainder_x
      - .offset:         244
        .size:           2
        .value_kind:     hidden_remainder_y
      - .offset:         246
        .size:           2
        .value_kind:     hidden_remainder_z
      - .offset:         264
        .size:           8
        .value_kind:     hidden_global_offset_x
      - .offset:         272
        .size:           8
        .value_kind:     hidden_global_offset_y
      - .offset:         280
        .size:           8
        .value_kind:     hidden_global_offset_z
      - .offset:         288
        .size:           2
        .value_kind:     hidden_grid_dims
    .group_segment_fixed_size: 0
    .kernarg_segment_align: 8
    .kernarg_segment_size: 480
    .language:       OpenCL C
    .language_version:
      - 2
      - 0
    .max_flat_workgroup_size: 1024
    .name:           naive_conv_ab_packed_fwd_nhwc_half_double_half
    .private_segment_fixed_size: 0
    .sgpr_count:     71
    .sgpr_spill_count: 0
    .symbol:         naive_conv_ab_packed_fwd_nhwc_half_double_half.kd
    .uniform_work_group_size: 1
    .uses_dynamic_stack: false
    .vgpr_count:     28
    .vgpr_spill_count: 0
    .wavefront_size: 64
  - .args:
      - .actual_access:  read_only
        .address_space:  global
        .offset:         0
        .size:           8
        .value_kind:     global_buffer
      - .actual_access:  read_only
        .address_space:  global
        .offset:         8
        .size:           8
        .value_kind:     global_buffer
      - .offset:         16
        .size:           8
        .value_kind:     by_value
      - .offset:         24
        .size:           8
        .value_kind:     by_value
      - .address_space:  global
        .offset:         32
        .size:           8
        .value_kind:     global_buffer
      - .offset:         40
        .size:           40
        .value_kind:     by_value
      - .offset:         80
        .size:           40
        .value_kind:     by_value
      - .offset:         120
        .size:           40
        .value_kind:     by_value
      - .offset:         160
        .size:           4
        .value_kind:     by_value
      - .offset:         164
        .size:           4
        .value_kind:     by_value
      - .offset:         168
        .size:           4
        .value_kind:     by_value
      - .offset:         172
        .size:           4
        .value_kind:     by_value
      - .offset:         176
        .size:           4
        .value_kind:     by_value
      - .offset:         180
        .size:           4
        .value_kind:     by_value
      - .offset:         184
        .size:           4
        .value_kind:     by_value
      - .offset:         188
        .size:           4
        .value_kind:     by_value
      - .offset:         192
        .size:           4
        .value_kind:     by_value
      - .offset:         196
        .size:           4
        .value_kind:     by_value
      - .offset:         200
        .size:           4
        .value_kind:     by_value
      - .offset:         204
        .size:           4
        .value_kind:     by_value
      - .offset:         208
        .size:           4
        .value_kind:     by_value
      - .offset:         212
        .size:           4
        .value_kind:     by_value
      - .offset:         216
        .size:           4
        .value_kind:     by_value
      - .offset:         220
        .size:           4
        .value_kind:     by_value
      - .offset:         224
        .size:           4
        .value_kind:     hidden_block_count_x
      - .offset:         228
        .size:           4
        .value_kind:     hidden_block_count_y
      - .offset:         232
        .size:           4
        .value_kind:     hidden_block_count_z
      - .offset:         236
        .size:           2
        .value_kind:     hidden_group_size_x
      - .offset:         238
        .size:           2
        .value_kind:     hidden_group_size_y
      - .offset:         240
        .size:           2
        .value_kind:     hidden_group_size_z
      - .offset:         242
        .size:           2
        .value_kind:     hidden_remainder_x
      - .offset:         244
        .size:           2
        .value_kind:     hidden_remainder_y
      - .offset:         246
        .size:           2
        .value_kind:     hidden_remainder_z
      - .offset:         264
        .size:           8
        .value_kind:     hidden_global_offset_x
      - .offset:         272
        .size:           8
        .value_kind:     hidden_global_offset_y
      - .offset:         280
        .size:           8
        .value_kind:     hidden_global_offset_z
      - .offset:         288
        .size:           2
        .value_kind:     hidden_grid_dims
    .group_segment_fixed_size: 0
    .kernarg_segment_align: 8
    .kernarg_segment_size: 480
    .language:       OpenCL C
    .language_version:
      - 2
      - 0
    .max_flat_workgroup_size: 1024
    .name:           naive_conv_ab_nonpacked_fwd_nhwc_half_double_half
    .private_segment_fixed_size: 0
    .sgpr_count:     81
    .sgpr_spill_count: 0
    .symbol:         naive_conv_ab_nonpacked_fwd_nhwc_half_double_half.kd
    .uniform_work_group_size: 1
    .uses_dynamic_stack: false
    .vgpr_count:     30
    .vgpr_spill_count: 0
    .wavefront_size: 64
  - .args:
      - .actual_access:  read_only
        .address_space:  global
        .offset:         0
        .size:           8
        .value_kind:     global_buffer
      - .actual_access:  read_only
        .address_space:  global
        .offset:         8
        .size:           8
        .value_kind:     global_buffer
      - .offset:         16
        .size:           8
        .value_kind:     by_value
      - .offset:         24
        .size:           8
        .value_kind:     by_value
      - .address_space:  global
        .offset:         32
        .size:           8
        .value_kind:     global_buffer
      - .offset:         40
        .size:           40
        .value_kind:     by_value
      - .offset:         80
        .size:           40
        .value_kind:     by_value
      - .offset:         120
        .size:           40
        .value_kind:     by_value
      - .offset:         160
        .size:           4
        .value_kind:     by_value
      - .offset:         164
        .size:           4
        .value_kind:     by_value
      - .offset:         168
        .size:           4
        .value_kind:     by_value
      - .offset:         172
        .size:           4
        .value_kind:     by_value
      - .offset:         176
        .size:           4
        .value_kind:     by_value
      - .offset:         180
        .size:           4
        .value_kind:     by_value
      - .offset:         184
        .size:           4
        .value_kind:     by_value
      - .offset:         188
        .size:           4
        .value_kind:     by_value
      - .offset:         192
        .size:           4
        .value_kind:     by_value
      - .offset:         196
        .size:           4
        .value_kind:     by_value
      - .offset:         200
        .size:           4
        .value_kind:     by_value
      - .offset:         204
        .size:           4
        .value_kind:     by_value
      - .offset:         208
        .size:           4
        .value_kind:     by_value
      - .offset:         212
        .size:           4
        .value_kind:     by_value
      - .offset:         216
        .size:           4
        .value_kind:     by_value
      - .offset:         220
        .size:           4
        .value_kind:     by_value
      - .offset:         224
        .size:           4
        .value_kind:     hidden_block_count_x
      - .offset:         228
        .size:           4
        .value_kind:     hidden_block_count_y
      - .offset:         232
        .size:           4
        .value_kind:     hidden_block_count_z
      - .offset:         236
        .size:           2
        .value_kind:     hidden_group_size_x
      - .offset:         238
        .size:           2
        .value_kind:     hidden_group_size_y
      - .offset:         240
        .size:           2
        .value_kind:     hidden_group_size_z
      - .offset:         242
        .size:           2
        .value_kind:     hidden_remainder_x
      - .offset:         244
        .size:           2
        .value_kind:     hidden_remainder_y
      - .offset:         246
        .size:           2
        .value_kind:     hidden_remainder_z
      - .offset:         264
        .size:           8
        .value_kind:     hidden_global_offset_x
      - .offset:         272
        .size:           8
        .value_kind:     hidden_global_offset_y
      - .offset:         280
        .size:           8
        .value_kind:     hidden_global_offset_z
      - .offset:         288
        .size:           2
        .value_kind:     hidden_grid_dims
    .group_segment_fixed_size: 0
    .kernarg_segment_align: 8
    .kernarg_segment_size: 480
    .language:       OpenCL C
    .language_version:
      - 2
      - 0
    .max_flat_workgroup_size: 1024
    .name:           naive_conv_ab_packed_fwd_nhwc_ushort_double_ushort
    .private_segment_fixed_size: 0
    .sgpr_count:     68
    .sgpr_spill_count: 0
    .symbol:         naive_conv_ab_packed_fwd_nhwc_ushort_double_ushort.kd
    .uniform_work_group_size: 1
    .uses_dynamic_stack: false
    .vgpr_count:     27
    .vgpr_spill_count: 0
    .wavefront_size: 64
  - .args:
      - .actual_access:  read_only
        .address_space:  global
        .offset:         0
        .size:           8
        .value_kind:     global_buffer
      - .actual_access:  read_only
        .address_space:  global
        .offset:         8
        .size:           8
        .value_kind:     global_buffer
      - .offset:         16
        .size:           8
        .value_kind:     by_value
      - .offset:         24
        .size:           8
        .value_kind:     by_value
      - .address_space:  global
        .offset:         32
        .size:           8
        .value_kind:     global_buffer
      - .offset:         40
        .size:           40
        .value_kind:     by_value
      - .offset:         80
        .size:           40
        .value_kind:     by_value
      - .offset:         120
        .size:           40
        .value_kind:     by_value
      - .offset:         160
        .size:           4
        .value_kind:     by_value
      - .offset:         164
        .size:           4
        .value_kind:     by_value
      - .offset:         168
        .size:           4
        .value_kind:     by_value
      - .offset:         172
        .size:           4
        .value_kind:     by_value
      - .offset:         176
        .size:           4
        .value_kind:     by_value
      - .offset:         180
        .size:           4
        .value_kind:     by_value
      - .offset:         184
        .size:           4
        .value_kind:     by_value
      - .offset:         188
        .size:           4
        .value_kind:     by_value
      - .offset:         192
        .size:           4
        .value_kind:     by_value
      - .offset:         196
        .size:           4
        .value_kind:     by_value
      - .offset:         200
        .size:           4
        .value_kind:     by_value
      - .offset:         204
        .size:           4
        .value_kind:     by_value
      - .offset:         208
        .size:           4
        .value_kind:     by_value
      - .offset:         212
        .size:           4
        .value_kind:     by_value
      - .offset:         216
        .size:           4
        .value_kind:     by_value
      - .offset:         220
        .size:           4
        .value_kind:     by_value
      - .offset:         224
        .size:           4
        .value_kind:     hidden_block_count_x
      - .offset:         228
        .size:           4
        .value_kind:     hidden_block_count_y
      - .offset:         232
        .size:           4
        .value_kind:     hidden_block_count_z
      - .offset:         236
        .size:           2
        .value_kind:     hidden_group_size_x
      - .offset:         238
        .size:           2
        .value_kind:     hidden_group_size_y
      - .offset:         240
        .size:           2
        .value_kind:     hidden_group_size_z
      - .offset:         242
        .size:           2
        .value_kind:     hidden_remainder_x
      - .offset:         244
        .size:           2
        .value_kind:     hidden_remainder_y
      - .offset:         246
        .size:           2
        .value_kind:     hidden_remainder_z
      - .offset:         264
        .size:           8
        .value_kind:     hidden_global_offset_x
      - .offset:         272
        .size:           8
        .value_kind:     hidden_global_offset_y
      - .offset:         280
        .size:           8
        .value_kind:     hidden_global_offset_z
      - .offset:         288
        .size:           2
        .value_kind:     hidden_grid_dims
    .group_segment_fixed_size: 0
    .kernarg_segment_align: 8
    .kernarg_segment_size: 480
    .language:       OpenCL C
    .language_version:
      - 2
      - 0
    .max_flat_workgroup_size: 1024
    .name:           naive_conv_ab_nonpacked_fwd_nhwc_ushort_double_ushort
    .private_segment_fixed_size: 0
    .sgpr_count:     78
    .sgpr_spill_count: 0
    .symbol:         naive_conv_ab_nonpacked_fwd_nhwc_ushort_double_ushort.kd
    .uniform_work_group_size: 1
    .uses_dynamic_stack: false
    .vgpr_count:     29
    .vgpr_spill_count: 0
    .wavefront_size: 64
  - .args:
      - .actual_access:  read_only
        .address_space:  global
        .offset:         0
        .size:           8
        .value_kind:     global_buffer
      - .actual_access:  read_only
        .address_space:  global
        .offset:         8
        .size:           8
        .value_kind:     global_buffer
      - .offset:         16
        .size:           8
        .value_kind:     by_value
      - .offset:         24
        .size:           8
        .value_kind:     by_value
      - .address_space:  global
        .offset:         32
        .size:           8
        .value_kind:     global_buffer
      - .offset:         40
        .size:           40
        .value_kind:     by_value
      - .offset:         80
        .size:           40
        .value_kind:     by_value
      - .offset:         120
        .size:           40
        .value_kind:     by_value
      - .offset:         160
        .size:           4
        .value_kind:     by_value
      - .offset:         164
        .size:           4
        .value_kind:     by_value
      - .offset:         168
        .size:           4
        .value_kind:     by_value
      - .offset:         172
        .size:           4
        .value_kind:     by_value
      - .offset:         176
        .size:           4
        .value_kind:     by_value
      - .offset:         180
        .size:           4
        .value_kind:     by_value
      - .offset:         184
        .size:           4
        .value_kind:     by_value
      - .offset:         188
        .size:           4
        .value_kind:     by_value
      - .offset:         192
        .size:           4
        .value_kind:     by_value
      - .offset:         196
        .size:           4
        .value_kind:     by_value
      - .offset:         200
        .size:           4
        .value_kind:     by_value
      - .offset:         204
        .size:           4
        .value_kind:     by_value
      - .offset:         208
        .size:           4
        .value_kind:     by_value
      - .offset:         212
        .size:           4
        .value_kind:     by_value
      - .offset:         216
        .size:           4
        .value_kind:     by_value
      - .offset:         220
        .size:           4
        .value_kind:     by_value
      - .offset:         224
        .size:           4
        .value_kind:     hidden_block_count_x
      - .offset:         228
        .size:           4
        .value_kind:     hidden_block_count_y
      - .offset:         232
        .size:           4
        .value_kind:     hidden_block_count_z
      - .offset:         236
        .size:           2
        .value_kind:     hidden_group_size_x
      - .offset:         238
        .size:           2
        .value_kind:     hidden_group_size_y
      - .offset:         240
        .size:           2
        .value_kind:     hidden_group_size_z
      - .offset:         242
        .size:           2
        .value_kind:     hidden_remainder_x
      - .offset:         244
        .size:           2
        .value_kind:     hidden_remainder_y
      - .offset:         246
        .size:           2
        .value_kind:     hidden_remainder_z
      - .offset:         264
        .size:           8
        .value_kind:     hidden_global_offset_x
      - .offset:         272
        .size:           8
        .value_kind:     hidden_global_offset_y
      - .offset:         280
        .size:           8
        .value_kind:     hidden_global_offset_z
      - .offset:         288
        .size:           2
        .value_kind:     hidden_grid_dims
    .group_segment_fixed_size: 0
    .kernarg_segment_align: 8
    .kernarg_segment_size: 480
    .language:       OpenCL C
    .language_version:
      - 2
      - 0
    .max_flat_workgroup_size: 1024
    .name:           naive_conv_ab_packed_fwd_nhwc_int8_t_int32_t_int8_t
    .private_segment_fixed_size: 0
    .sgpr_count:     62
    .sgpr_spill_count: 0
    .symbol:         naive_conv_ab_packed_fwd_nhwc_int8_t_int32_t_int8_t.kd
    .uniform_work_group_size: 1
    .uses_dynamic_stack: false
    .vgpr_count:     25
    .vgpr_spill_count: 0
    .wavefront_size: 64
  - .args:
      - .actual_access:  read_only
        .address_space:  global
        .offset:         0
        .size:           8
        .value_kind:     global_buffer
      - .actual_access:  read_only
        .address_space:  global
        .offset:         8
        .size:           8
        .value_kind:     global_buffer
      - .offset:         16
        .size:           8
        .value_kind:     by_value
      - .offset:         24
        .size:           8
        .value_kind:     by_value
      - .address_space:  global
        .offset:         32
        .size:           8
        .value_kind:     global_buffer
      - .offset:         40
        .size:           40
        .value_kind:     by_value
      - .offset:         80
        .size:           40
        .value_kind:     by_value
      - .offset:         120
        .size:           40
        .value_kind:     by_value
      - .offset:         160
        .size:           4
        .value_kind:     by_value
      - .offset:         164
        .size:           4
        .value_kind:     by_value
      - .offset:         168
        .size:           4
        .value_kind:     by_value
      - .offset:         172
        .size:           4
        .value_kind:     by_value
      - .offset:         176
        .size:           4
        .value_kind:     by_value
      - .offset:         180
        .size:           4
        .value_kind:     by_value
      - .offset:         184
        .size:           4
        .value_kind:     by_value
      - .offset:         188
        .size:           4
        .value_kind:     by_value
      - .offset:         192
        .size:           4
        .value_kind:     by_value
      - .offset:         196
        .size:           4
        .value_kind:     by_value
      - .offset:         200
        .size:           4
        .value_kind:     by_value
      - .offset:         204
        .size:           4
        .value_kind:     by_value
      - .offset:         208
        .size:           4
        .value_kind:     by_value
      - .offset:         212
        .size:           4
        .value_kind:     by_value
      - .offset:         216
        .size:           4
        .value_kind:     by_value
      - .offset:         220
        .size:           4
        .value_kind:     by_value
      - .offset:         224
        .size:           4
        .value_kind:     hidden_block_count_x
      - .offset:         228
        .size:           4
        .value_kind:     hidden_block_count_y
      - .offset:         232
        .size:           4
        .value_kind:     hidden_block_count_z
      - .offset:         236
        .size:           2
        .value_kind:     hidden_group_size_x
      - .offset:         238
        .size:           2
        .value_kind:     hidden_group_size_y
      - .offset:         240
        .size:           2
        .value_kind:     hidden_group_size_z
      - .offset:         242
        .size:           2
        .value_kind:     hidden_remainder_x
      - .offset:         244
        .size:           2
        .value_kind:     hidden_remainder_y
      - .offset:         246
        .size:           2
        .value_kind:     hidden_remainder_z
      - .offset:         264
        .size:           8
        .value_kind:     hidden_global_offset_x
      - .offset:         272
        .size:           8
        .value_kind:     hidden_global_offset_y
      - .offset:         280
        .size:           8
        .value_kind:     hidden_global_offset_z
      - .offset:         288
        .size:           2
        .value_kind:     hidden_grid_dims
    .group_segment_fixed_size: 0
    .kernarg_segment_align: 8
    .kernarg_segment_size: 480
    .language:       OpenCL C
    .language_version:
      - 2
      - 0
    .max_flat_workgroup_size: 1024
    .name:           naive_conv_ab_nonpacked_fwd_nhwc_int8_t_int32_t_int8_t
    .private_segment_fixed_size: 0
    .sgpr_count:     73
    .sgpr_spill_count: 0
    .symbol:         naive_conv_ab_nonpacked_fwd_nhwc_int8_t_int32_t_int8_t.kd
    .uniform_work_group_size: 1
    .uses_dynamic_stack: false
    .vgpr_count:     27
    .vgpr_spill_count: 0
    .wavefront_size: 64
  - .args:
      - .actual_access:  read_only
        .address_space:  global
        .offset:         0
        .size:           8
        .value_kind:     global_buffer
      - .actual_access:  read_only
        .address_space:  global
        .offset:         8
        .size:           8
        .value_kind:     global_buffer
      - .offset:         16
        .size:           8
        .value_kind:     by_value
      - .offset:         24
        .size:           8
        .value_kind:     by_value
      - .address_space:  global
        .offset:         32
        .size:           8
        .value_kind:     global_buffer
      - .offset:         40
        .size:           40
        .value_kind:     by_value
      - .offset:         80
        .size:           40
        .value_kind:     by_value
      - .offset:         120
        .size:           40
        .value_kind:     by_value
      - .offset:         160
        .size:           4
        .value_kind:     by_value
      - .offset:         164
        .size:           4
        .value_kind:     by_value
      - .offset:         168
        .size:           4
        .value_kind:     by_value
      - .offset:         172
        .size:           4
        .value_kind:     by_value
      - .offset:         176
        .size:           4
        .value_kind:     by_value
      - .offset:         180
        .size:           4
        .value_kind:     by_value
      - .offset:         184
        .size:           4
        .value_kind:     by_value
      - .offset:         188
        .size:           4
        .value_kind:     by_value
      - .offset:         192
        .size:           4
        .value_kind:     by_value
      - .offset:         196
        .size:           4
        .value_kind:     by_value
      - .offset:         200
        .size:           4
        .value_kind:     by_value
      - .offset:         204
        .size:           4
        .value_kind:     by_value
      - .offset:         208
        .size:           4
        .value_kind:     by_value
      - .offset:         212
        .size:           4
        .value_kind:     by_value
      - .offset:         216
        .size:           4
        .value_kind:     by_value
      - .offset:         220
        .size:           4
        .value_kind:     by_value
      - .offset:         224
        .size:           4
        .value_kind:     hidden_block_count_x
      - .offset:         228
        .size:           4
        .value_kind:     hidden_block_count_y
      - .offset:         232
        .size:           4
        .value_kind:     hidden_block_count_z
      - .offset:         236
        .size:           2
        .value_kind:     hidden_group_size_x
      - .offset:         238
        .size:           2
        .value_kind:     hidden_group_size_y
      - .offset:         240
        .size:           2
        .value_kind:     hidden_group_size_z
      - .offset:         242
        .size:           2
        .value_kind:     hidden_remainder_x
      - .offset:         244
        .size:           2
        .value_kind:     hidden_remainder_y
      - .offset:         246
        .size:           2
        .value_kind:     hidden_remainder_z
      - .offset:         264
        .size:           8
        .value_kind:     hidden_global_offset_x
      - .offset:         272
        .size:           8
        .value_kind:     hidden_global_offset_y
      - .offset:         280
        .size:           8
        .value_kind:     hidden_global_offset_z
      - .offset:         288
        .size:           2
        .value_kind:     hidden_grid_dims
    .group_segment_fixed_size: 0
    .kernarg_segment_align: 8
    .kernarg_segment_size: 480
    .language:       OpenCL C
    .language_version:
      - 2
      - 0
    .max_flat_workgroup_size: 1024
    .name:           naive_conv_ab_packed_fwd_nhwc_int8_t_int32_t_int32_t
    .private_segment_fixed_size: 0
    .sgpr_count:     62
    .sgpr_spill_count: 0
    .symbol:         naive_conv_ab_packed_fwd_nhwc_int8_t_int32_t_int32_t.kd
    .uniform_work_group_size: 1
    .uses_dynamic_stack: false
    .vgpr_count:     25
    .vgpr_spill_count: 0
    .wavefront_size: 64
  - .args:
      - .actual_access:  read_only
        .address_space:  global
        .offset:         0
        .size:           8
        .value_kind:     global_buffer
      - .actual_access:  read_only
        .address_space:  global
        .offset:         8
        .size:           8
        .value_kind:     global_buffer
      - .offset:         16
        .size:           8
        .value_kind:     by_value
      - .offset:         24
        .size:           8
        .value_kind:     by_value
      - .address_space:  global
        .offset:         32
        .size:           8
        .value_kind:     global_buffer
      - .offset:         40
        .size:           40
        .value_kind:     by_value
      - .offset:         80
        .size:           40
        .value_kind:     by_value
      - .offset:         120
        .size:           40
        .value_kind:     by_value
      - .offset:         160
        .size:           4
        .value_kind:     by_value
      - .offset:         164
        .size:           4
        .value_kind:     by_value
      - .offset:         168
        .size:           4
        .value_kind:     by_value
      - .offset:         172
        .size:           4
        .value_kind:     by_value
      - .offset:         176
        .size:           4
        .value_kind:     by_value
      - .offset:         180
        .size:           4
        .value_kind:     by_value
      - .offset:         184
        .size:           4
        .value_kind:     by_value
      - .offset:         188
        .size:           4
        .value_kind:     by_value
      - .offset:         192
        .size:           4
        .value_kind:     by_value
      - .offset:         196
        .size:           4
        .value_kind:     by_value
      - .offset:         200
        .size:           4
        .value_kind:     by_value
      - .offset:         204
        .size:           4
        .value_kind:     by_value
      - .offset:         208
        .size:           4
        .value_kind:     by_value
      - .offset:         212
        .size:           4
        .value_kind:     by_value
      - .offset:         216
        .size:           4
        .value_kind:     by_value
      - .offset:         220
        .size:           4
        .value_kind:     by_value
      - .offset:         224
        .size:           4
        .value_kind:     hidden_block_count_x
      - .offset:         228
        .size:           4
        .value_kind:     hidden_block_count_y
      - .offset:         232
        .size:           4
        .value_kind:     hidden_block_count_z
      - .offset:         236
        .size:           2
        .value_kind:     hidden_group_size_x
      - .offset:         238
        .size:           2
        .value_kind:     hidden_group_size_y
      - .offset:         240
        .size:           2
        .value_kind:     hidden_group_size_z
      - .offset:         242
        .size:           2
        .value_kind:     hidden_remainder_x
      - .offset:         244
        .size:           2
        .value_kind:     hidden_remainder_y
      - .offset:         246
        .size:           2
        .value_kind:     hidden_remainder_z
      - .offset:         264
        .size:           8
        .value_kind:     hidden_global_offset_x
      - .offset:         272
        .size:           8
        .value_kind:     hidden_global_offset_y
      - .offset:         280
        .size:           8
        .value_kind:     hidden_global_offset_z
      - .offset:         288
        .size:           2
        .value_kind:     hidden_grid_dims
    .group_segment_fixed_size: 0
    .kernarg_segment_align: 8
    .kernarg_segment_size: 480
    .language:       OpenCL C
    .language_version:
      - 2
      - 0
    .max_flat_workgroup_size: 1024
    .name:           naive_conv_ab_nonpacked_fwd_nhwc_int8_t_int32_t_int32_t
    .private_segment_fixed_size: 0
    .sgpr_count:     73
    .sgpr_spill_count: 0
    .symbol:         naive_conv_ab_nonpacked_fwd_nhwc_int8_t_int32_t_int32_t.kd
    .uniform_work_group_size: 1
    .uses_dynamic_stack: false
    .vgpr_count:     27
    .vgpr_spill_count: 0
    .wavefront_size: 64
  - .args:
      - .actual_access:  read_only
        .address_space:  global
        .offset:         0
        .size:           8
        .value_kind:     global_buffer
      - .actual_access:  read_only
        .address_space:  global
        .offset:         8
        .size:           8
        .value_kind:     global_buffer
      - .offset:         16
        .size:           8
        .value_kind:     by_value
      - .offset:         24
        .size:           8
        .value_kind:     by_value
      - .address_space:  global
        .offset:         32
        .size:           8
        .value_kind:     global_buffer
      - .offset:         40
        .size:           40
        .value_kind:     by_value
      - .offset:         80
        .size:           40
        .value_kind:     by_value
      - .offset:         120
        .size:           40
        .value_kind:     by_value
      - .offset:         160
        .size:           4
        .value_kind:     by_value
      - .offset:         164
        .size:           4
        .value_kind:     by_value
      - .offset:         168
        .size:           4
        .value_kind:     by_value
      - .offset:         172
        .size:           4
        .value_kind:     by_value
      - .offset:         176
        .size:           4
        .value_kind:     by_value
      - .offset:         180
        .size:           4
        .value_kind:     by_value
      - .offset:         184
        .size:           4
        .value_kind:     by_value
      - .offset:         188
        .size:           4
        .value_kind:     by_value
      - .offset:         192
        .size:           4
        .value_kind:     by_value
      - .offset:         196
        .size:           4
        .value_kind:     by_value
      - .offset:         200
        .size:           4
        .value_kind:     by_value
      - .offset:         204
        .size:           4
        .value_kind:     by_value
      - .offset:         208
        .size:           4
        .value_kind:     by_value
      - .offset:         212
        .size:           4
        .value_kind:     by_value
      - .offset:         216
        .size:           4
        .value_kind:     by_value
      - .offset:         220
        .size:           4
        .value_kind:     by_value
      - .offset:         224
        .size:           4
        .value_kind:     hidden_block_count_x
      - .offset:         228
        .size:           4
        .value_kind:     hidden_block_count_y
      - .offset:         232
        .size:           4
        .value_kind:     hidden_block_count_z
      - .offset:         236
        .size:           2
        .value_kind:     hidden_group_size_x
      - .offset:         238
        .size:           2
        .value_kind:     hidden_group_size_y
      - .offset:         240
        .size:           2
        .value_kind:     hidden_group_size_z
      - .offset:         242
        .size:           2
        .value_kind:     hidden_remainder_x
      - .offset:         244
        .size:           2
        .value_kind:     hidden_remainder_y
      - .offset:         246
        .size:           2
        .value_kind:     hidden_remainder_z
      - .offset:         264
        .size:           8
        .value_kind:     hidden_global_offset_x
      - .offset:         272
        .size:           8
        .value_kind:     hidden_global_offset_y
      - .offset:         280
        .size:           8
        .value_kind:     hidden_global_offset_z
      - .offset:         288
        .size:           2
        .value_kind:     hidden_grid_dims
    .group_segment_fixed_size: 0
    .kernarg_segment_align: 8
    .kernarg_segment_size: 480
    .language:       OpenCL C
    .language_version:
      - 2
      - 0
    .max_flat_workgroup_size: 1024
    .name:           naive_conv_ab_packed_fwd_nhwc_int8_t_int32_t_float
    .private_segment_fixed_size: 0
    .sgpr_count:     62
    .sgpr_spill_count: 0
    .symbol:         naive_conv_ab_packed_fwd_nhwc_int8_t_int32_t_float.kd
    .uniform_work_group_size: 1
    .uses_dynamic_stack: false
    .vgpr_count:     25
    .vgpr_spill_count: 0
    .wavefront_size: 64
  - .args:
      - .actual_access:  read_only
        .address_space:  global
        .offset:         0
        .size:           8
        .value_kind:     global_buffer
      - .actual_access:  read_only
        .address_space:  global
        .offset:         8
        .size:           8
        .value_kind:     global_buffer
      - .offset:         16
        .size:           8
        .value_kind:     by_value
      - .offset:         24
        .size:           8
        .value_kind:     by_value
      - .address_space:  global
        .offset:         32
        .size:           8
        .value_kind:     global_buffer
      - .offset:         40
        .size:           40
        .value_kind:     by_value
      - .offset:         80
        .size:           40
        .value_kind:     by_value
      - .offset:         120
        .size:           40
        .value_kind:     by_value
      - .offset:         160
        .size:           4
        .value_kind:     by_value
      - .offset:         164
        .size:           4
        .value_kind:     by_value
      - .offset:         168
        .size:           4
        .value_kind:     by_value
      - .offset:         172
        .size:           4
        .value_kind:     by_value
      - .offset:         176
        .size:           4
        .value_kind:     by_value
      - .offset:         180
        .size:           4
        .value_kind:     by_value
      - .offset:         184
        .size:           4
        .value_kind:     by_value
      - .offset:         188
        .size:           4
        .value_kind:     by_value
      - .offset:         192
        .size:           4
        .value_kind:     by_value
      - .offset:         196
        .size:           4
        .value_kind:     by_value
      - .offset:         200
        .size:           4
        .value_kind:     by_value
      - .offset:         204
        .size:           4
        .value_kind:     by_value
      - .offset:         208
        .size:           4
        .value_kind:     by_value
      - .offset:         212
        .size:           4
        .value_kind:     by_value
      - .offset:         216
        .size:           4
        .value_kind:     by_value
      - .offset:         220
        .size:           4
        .value_kind:     by_value
      - .offset:         224
        .size:           4
        .value_kind:     hidden_block_count_x
      - .offset:         228
        .size:           4
        .value_kind:     hidden_block_count_y
      - .offset:         232
        .size:           4
        .value_kind:     hidden_block_count_z
      - .offset:         236
        .size:           2
        .value_kind:     hidden_group_size_x
      - .offset:         238
        .size:           2
        .value_kind:     hidden_group_size_y
      - .offset:         240
        .size:           2
        .value_kind:     hidden_group_size_z
      - .offset:         242
        .size:           2
        .value_kind:     hidden_remainder_x
      - .offset:         244
        .size:           2
        .value_kind:     hidden_remainder_y
      - .offset:         246
        .size:           2
        .value_kind:     hidden_remainder_z
      - .offset:         264
        .size:           8
        .value_kind:     hidden_global_offset_x
      - .offset:         272
        .size:           8
        .value_kind:     hidden_global_offset_y
      - .offset:         280
        .size:           8
        .value_kind:     hidden_global_offset_z
      - .offset:         288
        .size:           2
        .value_kind:     hidden_grid_dims
    .group_segment_fixed_size: 0
    .kernarg_segment_align: 8
    .kernarg_segment_size: 480
    .language:       OpenCL C
    .language_version:
      - 2
      - 0
    .max_flat_workgroup_size: 1024
    .name:           naive_conv_ab_nonpacked_fwd_nhwc_int8_t_int32_t_float
    .private_segment_fixed_size: 0
    .sgpr_count:     73
    .sgpr_spill_count: 0
    .symbol:         naive_conv_ab_nonpacked_fwd_nhwc_int8_t_int32_t_float.kd
    .uniform_work_group_size: 1
    .uses_dynamic_stack: false
    .vgpr_count:     27
    .vgpr_spill_count: 0
    .wavefront_size: 64
  - .args:
      - .address_space:  global
        .offset:         0
        .size:           8
        .value_kind:     global_buffer
      - .actual_access:  read_only
        .address_space:  global
        .offset:         8
        .size:           8
        .value_kind:     global_buffer
      - .offset:         16
        .size:           8
        .value_kind:     by_value
      - .offset:         24
        .size:           8
        .value_kind:     by_value
      - .actual_access:  read_only
        .address_space:  global
        .offset:         32
        .size:           8
        .value_kind:     global_buffer
      - .offset:         40
        .size:           40
        .value_kind:     by_value
      - .offset:         80
        .size:           40
        .value_kind:     by_value
      - .offset:         120
        .size:           40
        .value_kind:     by_value
      - .offset:         160
        .size:           4
        .value_kind:     by_value
      - .offset:         164
        .size:           4
        .value_kind:     by_value
      - .offset:         168
        .size:           4
        .value_kind:     by_value
      - .offset:         172
        .size:           4
        .value_kind:     by_value
      - .offset:         176
        .size:           4
        .value_kind:     by_value
      - .offset:         180
        .size:           4
        .value_kind:     by_value
      - .offset:         184
        .size:           4
        .value_kind:     by_value
      - .offset:         188
        .size:           4
        .value_kind:     by_value
      - .offset:         192
        .size:           4
        .value_kind:     by_value
      - .offset:         196
        .size:           4
        .value_kind:     by_value
      - .offset:         200
        .size:           4
        .value_kind:     by_value
      - .offset:         204
        .size:           4
        .value_kind:     by_value
      - .offset:         208
        .size:           4
        .value_kind:     by_value
      - .offset:         212
        .size:           4
        .value_kind:     by_value
      - .offset:         216
        .size:           4
        .value_kind:     by_value
      - .offset:         220
        .size:           4
        .value_kind:     by_value
      - .offset:         224
        .size:           4
        .value_kind:     hidden_block_count_x
      - .offset:         228
        .size:           4
        .value_kind:     hidden_block_count_y
      - .offset:         232
        .size:           4
        .value_kind:     hidden_block_count_z
      - .offset:         236
        .size:           2
        .value_kind:     hidden_group_size_x
      - .offset:         238
        .size:           2
        .value_kind:     hidden_group_size_y
      - .offset:         240
        .size:           2
        .value_kind:     hidden_group_size_z
      - .offset:         242
        .size:           2
        .value_kind:     hidden_remainder_x
      - .offset:         244
        .size:           2
        .value_kind:     hidden_remainder_y
      - .offset:         246
        .size:           2
        .value_kind:     hidden_remainder_z
      - .offset:         264
        .size:           8
        .value_kind:     hidden_global_offset_x
      - .offset:         272
        .size:           8
        .value_kind:     hidden_global_offset_y
      - .offset:         280
        .size:           8
        .value_kind:     hidden_global_offset_z
      - .offset:         288
        .size:           2
        .value_kind:     hidden_grid_dims
    .group_segment_fixed_size: 0
    .kernarg_segment_align: 8
    .kernarg_segment_size: 480
    .language:       OpenCL C
    .language_version:
      - 2
      - 0
    .max_flat_workgroup_size: 1024
    .name:           naive_conv_ab_packed_bwd_nchw_float_double_float
    .private_segment_fixed_size: 0
    .sgpr_count:     64
    .sgpr_spill_count: 0
    .symbol:         naive_conv_ab_packed_bwd_nchw_float_double_float.kd
    .uniform_work_group_size: 1
    .uses_dynamic_stack: false
    .vgpr_count:     20
    .vgpr_spill_count: 0
    .wavefront_size: 64
  - .args:
      - .address_space:  global
        .offset:         0
        .size:           8
        .value_kind:     global_buffer
      - .actual_access:  read_only
        .address_space:  global
        .offset:         8
        .size:           8
        .value_kind:     global_buffer
      - .offset:         16
        .size:           8
        .value_kind:     by_value
      - .offset:         24
        .size:           8
        .value_kind:     by_value
      - .actual_access:  read_only
        .address_space:  global
        .offset:         32
        .size:           8
        .value_kind:     global_buffer
      - .offset:         40
        .size:           40
        .value_kind:     by_value
      - .offset:         80
        .size:           40
        .value_kind:     by_value
      - .offset:         120
        .size:           40
        .value_kind:     by_value
      - .offset:         160
        .size:           4
        .value_kind:     by_value
      - .offset:         164
        .size:           4
        .value_kind:     by_value
      - .offset:         168
        .size:           4
        .value_kind:     by_value
      - .offset:         172
        .size:           4
        .value_kind:     by_value
      - .offset:         176
        .size:           4
        .value_kind:     by_value
      - .offset:         180
        .size:           4
        .value_kind:     by_value
      - .offset:         184
        .size:           4
        .value_kind:     by_value
      - .offset:         188
        .size:           4
        .value_kind:     by_value
      - .offset:         192
        .size:           4
        .value_kind:     by_value
      - .offset:         196
        .size:           4
        .value_kind:     by_value
      - .offset:         200
        .size:           4
        .value_kind:     by_value
      - .offset:         204
        .size:           4
        .value_kind:     by_value
      - .offset:         208
        .size:           4
        .value_kind:     by_value
      - .offset:         212
        .size:           4
        .value_kind:     by_value
      - .offset:         216
        .size:           4
        .value_kind:     by_value
      - .offset:         220
        .size:           4
        .value_kind:     by_value
      - .offset:         224
        .size:           4
        .value_kind:     hidden_block_count_x
      - .offset:         228
        .size:           4
        .value_kind:     hidden_block_count_y
      - .offset:         232
        .size:           4
        .value_kind:     hidden_block_count_z
      - .offset:         236
        .size:           2
        .value_kind:     hidden_group_size_x
      - .offset:         238
        .size:           2
        .value_kind:     hidden_group_size_y
      - .offset:         240
        .size:           2
        .value_kind:     hidden_group_size_z
      - .offset:         242
        .size:           2
        .value_kind:     hidden_remainder_x
      - .offset:         244
        .size:           2
        .value_kind:     hidden_remainder_y
      - .offset:         246
        .size:           2
        .value_kind:     hidden_remainder_z
      - .offset:         264
        .size:           8
        .value_kind:     hidden_global_offset_x
      - .offset:         272
        .size:           8
        .value_kind:     hidden_global_offset_y
      - .offset:         280
        .size:           8
        .value_kind:     hidden_global_offset_z
      - .offset:         288
        .size:           2
        .value_kind:     hidden_grid_dims
    .group_segment_fixed_size: 0
    .kernarg_segment_align: 8
    .kernarg_segment_size: 480
    .language:       OpenCL C
    .language_version:
      - 2
      - 0
    .max_flat_workgroup_size: 1024
    .name:           naive_conv_ab_nonpacked_bwd_nchw_float_double_float
    .private_segment_fixed_size: 0
    .sgpr_count:     74
    .sgpr_spill_count: 0
    .symbol:         naive_conv_ab_nonpacked_bwd_nchw_float_double_float.kd
    .uniform_work_group_size: 1
    .uses_dynamic_stack: false
    .vgpr_count:     20
    .vgpr_spill_count: 0
    .wavefront_size: 64
  - .args:
      - .address_space:  global
        .offset:         0
        .size:           8
        .value_kind:     global_buffer
      - .actual_access:  read_only
        .address_space:  global
        .offset:         8
        .size:           8
        .value_kind:     global_buffer
      - .offset:         16
        .size:           8
        .value_kind:     by_value
      - .offset:         24
        .size:           8
        .value_kind:     by_value
      - .actual_access:  read_only
        .address_space:  global
        .offset:         32
        .size:           8
        .value_kind:     global_buffer
      - .offset:         40
        .size:           40
        .value_kind:     by_value
      - .offset:         80
        .size:           40
        .value_kind:     by_value
      - .offset:         120
        .size:           40
        .value_kind:     by_value
      - .offset:         160
        .size:           4
        .value_kind:     by_value
      - .offset:         164
        .size:           4
        .value_kind:     by_value
      - .offset:         168
        .size:           4
        .value_kind:     by_value
      - .offset:         172
        .size:           4
        .value_kind:     by_value
      - .offset:         176
        .size:           4
        .value_kind:     by_value
      - .offset:         180
        .size:           4
        .value_kind:     by_value
      - .offset:         184
        .size:           4
        .value_kind:     by_value
      - .offset:         188
        .size:           4
        .value_kind:     by_value
      - .offset:         192
        .size:           4
        .value_kind:     by_value
      - .offset:         196
        .size:           4
        .value_kind:     by_value
      - .offset:         200
        .size:           4
        .value_kind:     by_value
      - .offset:         204
        .size:           4
        .value_kind:     by_value
      - .offset:         208
        .size:           4
        .value_kind:     by_value
      - .offset:         212
        .size:           4
        .value_kind:     by_value
      - .offset:         216
        .size:           4
        .value_kind:     by_value
      - .offset:         220
        .size:           4
        .value_kind:     by_value
      - .offset:         224
        .size:           4
        .value_kind:     hidden_block_count_x
      - .offset:         228
        .size:           4
        .value_kind:     hidden_block_count_y
      - .offset:         232
        .size:           4
        .value_kind:     hidden_block_count_z
      - .offset:         236
        .size:           2
        .value_kind:     hidden_group_size_x
      - .offset:         238
        .size:           2
        .value_kind:     hidden_group_size_y
      - .offset:         240
        .size:           2
        .value_kind:     hidden_group_size_z
      - .offset:         242
        .size:           2
        .value_kind:     hidden_remainder_x
      - .offset:         244
        .size:           2
        .value_kind:     hidden_remainder_y
      - .offset:         246
        .size:           2
        .value_kind:     hidden_remainder_z
      - .offset:         264
        .size:           8
        .value_kind:     hidden_global_offset_x
      - .offset:         272
        .size:           8
        .value_kind:     hidden_global_offset_y
      - .offset:         280
        .size:           8
        .value_kind:     hidden_global_offset_z
      - .offset:         288
        .size:           2
        .value_kind:     hidden_grid_dims
    .group_segment_fixed_size: 0
    .kernarg_segment_align: 8
    .kernarg_segment_size: 480
    .language:       OpenCL C
    .language_version:
      - 2
      - 0
    .max_flat_workgroup_size: 1024
    .name:           naive_conv_ab_packed_bwd_nchw_half_double_half
    .private_segment_fixed_size: 0
    .sgpr_count:     67
    .sgpr_spill_count: 0
    .symbol:         naive_conv_ab_packed_bwd_nchw_half_double_half.kd
    .uniform_work_group_size: 1
    .uses_dynamic_stack: false
    .vgpr_count:     21
    .vgpr_spill_count: 0
    .wavefront_size: 64
  - .args:
      - .address_space:  global
        .offset:         0
        .size:           8
        .value_kind:     global_buffer
      - .actual_access:  read_only
        .address_space:  global
        .offset:         8
        .size:           8
        .value_kind:     global_buffer
      - .offset:         16
        .size:           8
        .value_kind:     by_value
      - .offset:         24
        .size:           8
        .value_kind:     by_value
      - .actual_access:  read_only
        .address_space:  global
        .offset:         32
        .size:           8
        .value_kind:     global_buffer
      - .offset:         40
        .size:           40
        .value_kind:     by_value
      - .offset:         80
        .size:           40
        .value_kind:     by_value
      - .offset:         120
        .size:           40
        .value_kind:     by_value
      - .offset:         160
        .size:           4
        .value_kind:     by_value
      - .offset:         164
        .size:           4
        .value_kind:     by_value
      - .offset:         168
        .size:           4
        .value_kind:     by_value
      - .offset:         172
        .size:           4
        .value_kind:     by_value
      - .offset:         176
        .size:           4
        .value_kind:     by_value
      - .offset:         180
        .size:           4
        .value_kind:     by_value
      - .offset:         184
        .size:           4
        .value_kind:     by_value
      - .offset:         188
        .size:           4
        .value_kind:     by_value
      - .offset:         192
        .size:           4
        .value_kind:     by_value
      - .offset:         196
        .size:           4
        .value_kind:     by_value
      - .offset:         200
        .size:           4
        .value_kind:     by_value
      - .offset:         204
        .size:           4
        .value_kind:     by_value
      - .offset:         208
        .size:           4
        .value_kind:     by_value
      - .offset:         212
        .size:           4
        .value_kind:     by_value
      - .offset:         216
        .size:           4
        .value_kind:     by_value
      - .offset:         220
        .size:           4
        .value_kind:     by_value
      - .offset:         224
        .size:           4
        .value_kind:     hidden_block_count_x
      - .offset:         228
        .size:           4
        .value_kind:     hidden_block_count_y
      - .offset:         232
        .size:           4
        .value_kind:     hidden_block_count_z
      - .offset:         236
        .size:           2
        .value_kind:     hidden_group_size_x
      - .offset:         238
        .size:           2
        .value_kind:     hidden_group_size_y
      - .offset:         240
        .size:           2
        .value_kind:     hidden_group_size_z
      - .offset:         242
        .size:           2
        .value_kind:     hidden_remainder_x
      - .offset:         244
        .size:           2
        .value_kind:     hidden_remainder_y
      - .offset:         246
        .size:           2
        .value_kind:     hidden_remainder_z
      - .offset:         264
        .size:           8
        .value_kind:     hidden_global_offset_x
      - .offset:         272
        .size:           8
        .value_kind:     hidden_global_offset_y
      - .offset:         280
        .size:           8
        .value_kind:     hidden_global_offset_z
      - .offset:         288
        .size:           2
        .value_kind:     hidden_grid_dims
    .group_segment_fixed_size: 0
    .kernarg_segment_align: 8
    .kernarg_segment_size: 480
    .language:       OpenCL C
    .language_version:
      - 2
      - 0
    .max_flat_workgroup_size: 1024
    .name:           naive_conv_ab_nonpacked_bwd_nchw_half_double_half
    .private_segment_fixed_size: 0
    .sgpr_count:     78
    .sgpr_spill_count: 0
    .symbol:         naive_conv_ab_nonpacked_bwd_nchw_half_double_half.kd
    .uniform_work_group_size: 1
    .uses_dynamic_stack: false
    .vgpr_count:     23
    .vgpr_spill_count: 0
    .wavefront_size: 64
  - .args:
      - .address_space:  global
        .offset:         0
        .size:           8
        .value_kind:     global_buffer
      - .actual_access:  read_only
        .address_space:  global
        .offset:         8
        .size:           8
        .value_kind:     global_buffer
      - .offset:         16
        .size:           8
        .value_kind:     by_value
      - .offset:         24
        .size:           8
        .value_kind:     by_value
      - .actual_access:  read_only
        .address_space:  global
        .offset:         32
        .size:           8
        .value_kind:     global_buffer
      - .offset:         40
        .size:           40
        .value_kind:     by_value
      - .offset:         80
        .size:           40
        .value_kind:     by_value
      - .offset:         120
        .size:           40
        .value_kind:     by_value
      - .offset:         160
        .size:           4
        .value_kind:     by_value
      - .offset:         164
        .size:           4
        .value_kind:     by_value
      - .offset:         168
        .size:           4
        .value_kind:     by_value
      - .offset:         172
        .size:           4
        .value_kind:     by_value
      - .offset:         176
        .size:           4
        .value_kind:     by_value
      - .offset:         180
        .size:           4
        .value_kind:     by_value
      - .offset:         184
        .size:           4
        .value_kind:     by_value
      - .offset:         188
        .size:           4
        .value_kind:     by_value
      - .offset:         192
        .size:           4
        .value_kind:     by_value
      - .offset:         196
        .size:           4
        .value_kind:     by_value
      - .offset:         200
        .size:           4
        .value_kind:     by_value
      - .offset:         204
        .size:           4
        .value_kind:     by_value
      - .offset:         208
        .size:           4
        .value_kind:     by_value
      - .offset:         212
        .size:           4
        .value_kind:     by_value
      - .offset:         216
        .size:           4
        .value_kind:     by_value
      - .offset:         220
        .size:           4
        .value_kind:     by_value
      - .offset:         224
        .size:           4
        .value_kind:     hidden_block_count_x
      - .offset:         228
        .size:           4
        .value_kind:     hidden_block_count_y
      - .offset:         232
        .size:           4
        .value_kind:     hidden_block_count_z
      - .offset:         236
        .size:           2
        .value_kind:     hidden_group_size_x
      - .offset:         238
        .size:           2
        .value_kind:     hidden_group_size_y
      - .offset:         240
        .size:           2
        .value_kind:     hidden_group_size_z
      - .offset:         242
        .size:           2
        .value_kind:     hidden_remainder_x
      - .offset:         244
        .size:           2
        .value_kind:     hidden_remainder_y
      - .offset:         246
        .size:           2
        .value_kind:     hidden_remainder_z
      - .offset:         264
        .size:           8
        .value_kind:     hidden_global_offset_x
      - .offset:         272
        .size:           8
        .value_kind:     hidden_global_offset_y
      - .offset:         280
        .size:           8
        .value_kind:     hidden_global_offset_z
      - .offset:         288
        .size:           2
        .value_kind:     hidden_grid_dims
    .group_segment_fixed_size: 0
    .kernarg_segment_align: 8
    .kernarg_segment_size: 480
    .language:       OpenCL C
    .language_version:
      - 2
      - 0
    .max_flat_workgroup_size: 1024
    .name:           naive_conv_ab_packed_bwd_nchw_ushort_double_ushort
    .private_segment_fixed_size: 0
    .sgpr_count:     65
    .sgpr_spill_count: 0
    .symbol:         naive_conv_ab_packed_bwd_nchw_ushort_double_ushort.kd
    .uniform_work_group_size: 1
    .uses_dynamic_stack: false
    .vgpr_count:     21
    .vgpr_spill_count: 0
    .wavefront_size: 64
  - .args:
      - .address_space:  global
        .offset:         0
        .size:           8
        .value_kind:     global_buffer
      - .actual_access:  read_only
        .address_space:  global
        .offset:         8
        .size:           8
        .value_kind:     global_buffer
      - .offset:         16
        .size:           8
        .value_kind:     by_value
      - .offset:         24
        .size:           8
        .value_kind:     by_value
      - .actual_access:  read_only
        .address_space:  global
        .offset:         32
        .size:           8
        .value_kind:     global_buffer
      - .offset:         40
        .size:           40
        .value_kind:     by_value
      - .offset:         80
        .size:           40
        .value_kind:     by_value
      - .offset:         120
        .size:           40
        .value_kind:     by_value
      - .offset:         160
        .size:           4
        .value_kind:     by_value
      - .offset:         164
        .size:           4
        .value_kind:     by_value
      - .offset:         168
        .size:           4
        .value_kind:     by_value
      - .offset:         172
        .size:           4
        .value_kind:     by_value
      - .offset:         176
        .size:           4
        .value_kind:     by_value
      - .offset:         180
        .size:           4
        .value_kind:     by_value
      - .offset:         184
        .size:           4
        .value_kind:     by_value
      - .offset:         188
        .size:           4
        .value_kind:     by_value
      - .offset:         192
        .size:           4
        .value_kind:     by_value
      - .offset:         196
        .size:           4
        .value_kind:     by_value
      - .offset:         200
        .size:           4
        .value_kind:     by_value
      - .offset:         204
        .size:           4
        .value_kind:     by_value
      - .offset:         208
        .size:           4
        .value_kind:     by_value
      - .offset:         212
        .size:           4
        .value_kind:     by_value
      - .offset:         216
        .size:           4
        .value_kind:     by_value
      - .offset:         220
        .size:           4
        .value_kind:     by_value
      - .offset:         224
        .size:           4
        .value_kind:     hidden_block_count_x
      - .offset:         228
        .size:           4
        .value_kind:     hidden_block_count_y
      - .offset:         232
        .size:           4
        .value_kind:     hidden_block_count_z
      - .offset:         236
        .size:           2
        .value_kind:     hidden_group_size_x
      - .offset:         238
        .size:           2
        .value_kind:     hidden_group_size_y
      - .offset:         240
        .size:           2
        .value_kind:     hidden_group_size_z
      - .offset:         242
        .size:           2
        .value_kind:     hidden_remainder_x
      - .offset:         244
        .size:           2
        .value_kind:     hidden_remainder_y
      - .offset:         246
        .size:           2
        .value_kind:     hidden_remainder_z
      - .offset:         264
        .size:           8
        .value_kind:     hidden_global_offset_x
      - .offset:         272
        .size:           8
        .value_kind:     hidden_global_offset_y
      - .offset:         280
        .size:           8
        .value_kind:     hidden_global_offset_z
      - .offset:         288
        .size:           2
        .value_kind:     hidden_grid_dims
    .group_segment_fixed_size: 0
    .kernarg_segment_align: 8
    .kernarg_segment_size: 480
    .language:       OpenCL C
    .language_version:
      - 2
      - 0
    .max_flat_workgroup_size: 1024
    .name:           naive_conv_ab_nonpacked_bwd_nchw_ushort_double_ushort
    .private_segment_fixed_size: 0
    .sgpr_count:     75
    .sgpr_spill_count: 0
    .symbol:         naive_conv_ab_nonpacked_bwd_nchw_ushort_double_ushort.kd
    .uniform_work_group_size: 1
    .uses_dynamic_stack: false
    .vgpr_count:     21
    .vgpr_spill_count: 0
    .wavefront_size: 64
  - .args:
      - .address_space:  global
        .offset:         0
        .size:           8
        .value_kind:     global_buffer
      - .actual_access:  read_only
        .address_space:  global
        .offset:         8
        .size:           8
        .value_kind:     global_buffer
      - .offset:         16
        .size:           8
        .value_kind:     by_value
      - .offset:         24
        .size:           8
        .value_kind:     by_value
      - .actual_access:  read_only
        .address_space:  global
        .offset:         32
        .size:           8
        .value_kind:     global_buffer
      - .offset:         40
        .size:           40
        .value_kind:     by_value
      - .offset:         80
        .size:           40
        .value_kind:     by_value
      - .offset:         120
        .size:           40
        .value_kind:     by_value
      - .offset:         160
        .size:           4
        .value_kind:     by_value
      - .offset:         164
        .size:           4
        .value_kind:     by_value
      - .offset:         168
        .size:           4
        .value_kind:     by_value
      - .offset:         172
        .size:           4
        .value_kind:     by_value
      - .offset:         176
        .size:           4
        .value_kind:     by_value
      - .offset:         180
        .size:           4
        .value_kind:     by_value
      - .offset:         184
        .size:           4
        .value_kind:     by_value
      - .offset:         188
        .size:           4
        .value_kind:     by_value
      - .offset:         192
        .size:           4
        .value_kind:     by_value
      - .offset:         196
        .size:           4
        .value_kind:     by_value
      - .offset:         200
        .size:           4
        .value_kind:     by_value
      - .offset:         204
        .size:           4
        .value_kind:     by_value
      - .offset:         208
        .size:           4
        .value_kind:     by_value
      - .offset:         212
        .size:           4
        .value_kind:     by_value
      - .offset:         216
        .size:           4
        .value_kind:     by_value
      - .offset:         220
        .size:           4
        .value_kind:     by_value
      - .offset:         224
        .size:           4
        .value_kind:     hidden_block_count_x
      - .offset:         228
        .size:           4
        .value_kind:     hidden_block_count_y
      - .offset:         232
        .size:           4
        .value_kind:     hidden_block_count_z
      - .offset:         236
        .size:           2
        .value_kind:     hidden_group_size_x
      - .offset:         238
        .size:           2
        .value_kind:     hidden_group_size_y
      - .offset:         240
        .size:           2
        .value_kind:     hidden_group_size_z
      - .offset:         242
        .size:           2
        .value_kind:     hidden_remainder_x
      - .offset:         244
        .size:           2
        .value_kind:     hidden_remainder_y
      - .offset:         246
        .size:           2
        .value_kind:     hidden_remainder_z
      - .offset:         264
        .size:           8
        .value_kind:     hidden_global_offset_x
      - .offset:         272
        .size:           8
        .value_kind:     hidden_global_offset_y
      - .offset:         280
        .size:           8
        .value_kind:     hidden_global_offset_z
      - .offset:         288
        .size:           2
        .value_kind:     hidden_grid_dims
    .group_segment_fixed_size: 0
    .kernarg_segment_align: 8
    .kernarg_segment_size: 480
    .language:       OpenCL C
    .language_version:
      - 2
      - 0
    .max_flat_workgroup_size: 1024
    .name:           naive_conv_ab_packed_bwd_nhwc_float_double_float
    .private_segment_fixed_size: 0
    .sgpr_count:     74
    .sgpr_spill_count: 0
    .symbol:         naive_conv_ab_packed_bwd_nhwc_float_double_float.kd
    .uniform_work_group_size: 1
    .uses_dynamic_stack: false
    .vgpr_count:     26
    .vgpr_spill_count: 0
    .wavefront_size: 64
  - .args:
      - .address_space:  global
        .offset:         0
        .size:           8
        .value_kind:     global_buffer
      - .actual_access:  read_only
        .address_space:  global
        .offset:         8
        .size:           8
        .value_kind:     global_buffer
      - .offset:         16
        .size:           8
        .value_kind:     by_value
      - .offset:         24
        .size:           8
        .value_kind:     by_value
      - .actual_access:  read_only
        .address_space:  global
        .offset:         32
        .size:           8
        .value_kind:     global_buffer
      - .offset:         40
        .size:           40
        .value_kind:     by_value
      - .offset:         80
        .size:           40
        .value_kind:     by_value
      - .offset:         120
        .size:           40
        .value_kind:     by_value
      - .offset:         160
        .size:           4
        .value_kind:     by_value
      - .offset:         164
        .size:           4
        .value_kind:     by_value
      - .offset:         168
        .size:           4
        .value_kind:     by_value
      - .offset:         172
        .size:           4
        .value_kind:     by_value
      - .offset:         176
        .size:           4
        .value_kind:     by_value
      - .offset:         180
        .size:           4
        .value_kind:     by_value
      - .offset:         184
        .size:           4
        .value_kind:     by_value
      - .offset:         188
        .size:           4
        .value_kind:     by_value
      - .offset:         192
        .size:           4
        .value_kind:     by_value
      - .offset:         196
        .size:           4
        .value_kind:     by_value
      - .offset:         200
        .size:           4
        .value_kind:     by_value
      - .offset:         204
        .size:           4
        .value_kind:     by_value
      - .offset:         208
        .size:           4
        .value_kind:     by_value
      - .offset:         212
        .size:           4
        .value_kind:     by_value
      - .offset:         216
        .size:           4
        .value_kind:     by_value
      - .offset:         220
        .size:           4
        .value_kind:     by_value
      - .offset:         224
        .size:           4
        .value_kind:     hidden_block_count_x
      - .offset:         228
        .size:           4
        .value_kind:     hidden_block_count_y
      - .offset:         232
        .size:           4
        .value_kind:     hidden_block_count_z
      - .offset:         236
        .size:           2
        .value_kind:     hidden_group_size_x
      - .offset:         238
        .size:           2
        .value_kind:     hidden_group_size_y
      - .offset:         240
        .size:           2
        .value_kind:     hidden_group_size_z
      - .offset:         242
        .size:           2
        .value_kind:     hidden_remainder_x
      - .offset:         244
        .size:           2
        .value_kind:     hidden_remainder_y
      - .offset:         246
        .size:           2
        .value_kind:     hidden_remainder_z
      - .offset:         264
        .size:           8
        .value_kind:     hidden_global_offset_x
      - .offset:         272
        .size:           8
        .value_kind:     hidden_global_offset_y
      - .offset:         280
        .size:           8
        .value_kind:     hidden_global_offset_z
      - .offset:         288
        .size:           2
        .value_kind:     hidden_grid_dims
    .group_segment_fixed_size: 0
    .kernarg_segment_align: 8
    .kernarg_segment_size: 480
    .language:       OpenCL C
    .language_version:
      - 2
      - 0
    .max_flat_workgroup_size: 1024
    .name:           naive_conv_ab_nonpacked_bwd_nhwc_float_double_float
    .private_segment_fixed_size: 0
    .sgpr_count:     81
    .sgpr_spill_count: 0
    .symbol:         naive_conv_ab_nonpacked_bwd_nhwc_float_double_float.kd
    .uniform_work_group_size: 1
    .uses_dynamic_stack: false
    .vgpr_count:     28
    .vgpr_spill_count: 0
    .wavefront_size: 64
  - .args:
      - .address_space:  global
        .offset:         0
        .size:           8
        .value_kind:     global_buffer
      - .actual_access:  read_only
        .address_space:  global
        .offset:         8
        .size:           8
        .value_kind:     global_buffer
      - .offset:         16
        .size:           8
        .value_kind:     by_value
      - .offset:         24
        .size:           8
        .value_kind:     by_value
      - .actual_access:  read_only
        .address_space:  global
        .offset:         32
        .size:           8
        .value_kind:     global_buffer
      - .offset:         40
        .size:           40
        .value_kind:     by_value
      - .offset:         80
        .size:           40
        .value_kind:     by_value
      - .offset:         120
        .size:           40
        .value_kind:     by_value
      - .offset:         160
        .size:           4
        .value_kind:     by_value
      - .offset:         164
        .size:           4
        .value_kind:     by_value
      - .offset:         168
        .size:           4
        .value_kind:     by_value
      - .offset:         172
        .size:           4
        .value_kind:     by_value
      - .offset:         176
        .size:           4
        .value_kind:     by_value
      - .offset:         180
        .size:           4
        .value_kind:     by_value
      - .offset:         184
        .size:           4
        .value_kind:     by_value
      - .offset:         188
        .size:           4
        .value_kind:     by_value
      - .offset:         192
        .size:           4
        .value_kind:     by_value
      - .offset:         196
        .size:           4
        .value_kind:     by_value
      - .offset:         200
        .size:           4
        .value_kind:     by_value
      - .offset:         204
        .size:           4
        .value_kind:     by_value
      - .offset:         208
        .size:           4
        .value_kind:     by_value
      - .offset:         212
        .size:           4
        .value_kind:     by_value
      - .offset:         216
        .size:           4
        .value_kind:     by_value
      - .offset:         220
        .size:           4
        .value_kind:     by_value
      - .offset:         224
        .size:           4
        .value_kind:     hidden_block_count_x
      - .offset:         228
        .size:           4
        .value_kind:     hidden_block_count_y
      - .offset:         232
        .size:           4
        .value_kind:     hidden_block_count_z
      - .offset:         236
        .size:           2
        .value_kind:     hidden_group_size_x
      - .offset:         238
        .size:           2
        .value_kind:     hidden_group_size_y
      - .offset:         240
        .size:           2
        .value_kind:     hidden_group_size_z
      - .offset:         242
        .size:           2
        .value_kind:     hidden_remainder_x
      - .offset:         244
        .size:           2
        .value_kind:     hidden_remainder_y
      - .offset:         246
        .size:           2
        .value_kind:     hidden_remainder_z
      - .offset:         264
        .size:           8
        .value_kind:     hidden_global_offset_x
      - .offset:         272
        .size:           8
        .value_kind:     hidden_global_offset_y
      - .offset:         280
        .size:           8
        .value_kind:     hidden_global_offset_z
      - .offset:         288
        .size:           2
        .value_kind:     hidden_grid_dims
    .group_segment_fixed_size: 0
    .kernarg_segment_align: 8
    .kernarg_segment_size: 480
    .language:       OpenCL C
    .language_version:
      - 2
      - 0
    .max_flat_workgroup_size: 1024
    .name:           naive_conv_ab_packed_bwd_nhwc_half_double_half
    .private_segment_fixed_size: 0
    .sgpr_count:     78
    .sgpr_spill_count: 0
    .symbol:         naive_conv_ab_packed_bwd_nhwc_half_double_half.kd
    .uniform_work_group_size: 1
    .uses_dynamic_stack: false
    .vgpr_count:     28
    .vgpr_spill_count: 0
    .wavefront_size: 64
  - .args:
      - .address_space:  global
        .offset:         0
        .size:           8
        .value_kind:     global_buffer
      - .actual_access:  read_only
        .address_space:  global
        .offset:         8
        .size:           8
        .value_kind:     global_buffer
      - .offset:         16
        .size:           8
        .value_kind:     by_value
      - .offset:         24
        .size:           8
        .value_kind:     by_value
      - .actual_access:  read_only
        .address_space:  global
        .offset:         32
        .size:           8
        .value_kind:     global_buffer
      - .offset:         40
        .size:           40
        .value_kind:     by_value
      - .offset:         80
        .size:           40
        .value_kind:     by_value
      - .offset:         120
        .size:           40
        .value_kind:     by_value
      - .offset:         160
        .size:           4
        .value_kind:     by_value
      - .offset:         164
        .size:           4
        .value_kind:     by_value
      - .offset:         168
        .size:           4
        .value_kind:     by_value
      - .offset:         172
        .size:           4
        .value_kind:     by_value
      - .offset:         176
        .size:           4
        .value_kind:     by_value
      - .offset:         180
        .size:           4
        .value_kind:     by_value
      - .offset:         184
        .size:           4
        .value_kind:     by_value
      - .offset:         188
        .size:           4
        .value_kind:     by_value
      - .offset:         192
        .size:           4
        .value_kind:     by_value
      - .offset:         196
        .size:           4
        .value_kind:     by_value
      - .offset:         200
        .size:           4
        .value_kind:     by_value
      - .offset:         204
        .size:           4
        .value_kind:     by_value
      - .offset:         208
        .size:           4
        .value_kind:     by_value
      - .offset:         212
        .size:           4
        .value_kind:     by_value
      - .offset:         216
        .size:           4
        .value_kind:     by_value
      - .offset:         220
        .size:           4
        .value_kind:     by_value
      - .offset:         224
        .size:           4
        .value_kind:     hidden_block_count_x
      - .offset:         228
        .size:           4
        .value_kind:     hidden_block_count_y
      - .offset:         232
        .size:           4
        .value_kind:     hidden_block_count_z
      - .offset:         236
        .size:           2
        .value_kind:     hidden_group_size_x
      - .offset:         238
        .size:           2
        .value_kind:     hidden_group_size_y
      - .offset:         240
        .size:           2
        .value_kind:     hidden_group_size_z
      - .offset:         242
        .size:           2
        .value_kind:     hidden_remainder_x
      - .offset:         244
        .size:           2
        .value_kind:     hidden_remainder_y
      - .offset:         246
        .size:           2
        .value_kind:     hidden_remainder_z
      - .offset:         264
        .size:           8
        .value_kind:     hidden_global_offset_x
      - .offset:         272
        .size:           8
        .value_kind:     hidden_global_offset_y
      - .offset:         280
        .size:           8
        .value_kind:     hidden_global_offset_z
      - .offset:         288
        .size:           2
        .value_kind:     hidden_grid_dims
    .group_segment_fixed_size: 0
    .kernarg_segment_align: 8
    .kernarg_segment_size: 480
    .language:       OpenCL C
    .language_version:
      - 2
      - 0
    .max_flat_workgroup_size: 1024
    .name:           naive_conv_ab_nonpacked_bwd_nhwc_half_double_half
    .private_segment_fixed_size: 0
    .sgpr_count:     85
    .sgpr_spill_count: 0
    .symbol:         naive_conv_ab_nonpacked_bwd_nhwc_half_double_half.kd
    .uniform_work_group_size: 1
    .uses_dynamic_stack: false
    .vgpr_count:     30
    .vgpr_spill_count: 0
    .wavefront_size: 64
  - .args:
      - .address_space:  global
        .offset:         0
        .size:           8
        .value_kind:     global_buffer
      - .actual_access:  read_only
        .address_space:  global
        .offset:         8
        .size:           8
        .value_kind:     global_buffer
      - .offset:         16
        .size:           8
        .value_kind:     by_value
      - .offset:         24
        .size:           8
        .value_kind:     by_value
      - .actual_access:  read_only
        .address_space:  global
        .offset:         32
        .size:           8
        .value_kind:     global_buffer
      - .offset:         40
        .size:           40
        .value_kind:     by_value
      - .offset:         80
        .size:           40
        .value_kind:     by_value
      - .offset:         120
        .size:           40
        .value_kind:     by_value
      - .offset:         160
        .size:           4
        .value_kind:     by_value
      - .offset:         164
        .size:           4
        .value_kind:     by_value
      - .offset:         168
        .size:           4
        .value_kind:     by_value
      - .offset:         172
        .size:           4
        .value_kind:     by_value
      - .offset:         176
        .size:           4
        .value_kind:     by_value
      - .offset:         180
        .size:           4
        .value_kind:     by_value
      - .offset:         184
        .size:           4
        .value_kind:     by_value
      - .offset:         188
        .size:           4
        .value_kind:     by_value
      - .offset:         192
        .size:           4
        .value_kind:     by_value
      - .offset:         196
        .size:           4
        .value_kind:     by_value
      - .offset:         200
        .size:           4
        .value_kind:     by_value
      - .offset:         204
        .size:           4
        .value_kind:     by_value
      - .offset:         208
        .size:           4
        .value_kind:     by_value
      - .offset:         212
        .size:           4
        .value_kind:     by_value
      - .offset:         216
        .size:           4
        .value_kind:     by_value
      - .offset:         220
        .size:           4
        .value_kind:     by_value
      - .offset:         224
        .size:           4
        .value_kind:     hidden_block_count_x
      - .offset:         228
        .size:           4
        .value_kind:     hidden_block_count_y
      - .offset:         232
        .size:           4
        .value_kind:     hidden_block_count_z
      - .offset:         236
        .size:           2
        .value_kind:     hidden_group_size_x
      - .offset:         238
        .size:           2
        .value_kind:     hidden_group_size_y
      - .offset:         240
        .size:           2
        .value_kind:     hidden_group_size_z
      - .offset:         242
        .size:           2
        .value_kind:     hidden_remainder_x
      - .offset:         244
        .size:           2
        .value_kind:     hidden_remainder_y
      - .offset:         246
        .size:           2
        .value_kind:     hidden_remainder_z
      - .offset:         264
        .size:           8
        .value_kind:     hidden_global_offset_x
      - .offset:         272
        .size:           8
        .value_kind:     hidden_global_offset_y
      - .offset:         280
        .size:           8
        .value_kind:     hidden_global_offset_z
      - .offset:         288
        .size:           2
        .value_kind:     hidden_grid_dims
    .group_segment_fixed_size: 0
    .kernarg_segment_align: 8
    .kernarg_segment_size: 480
    .language:       OpenCL C
    .language_version:
      - 2
      - 0
    .max_flat_workgroup_size: 1024
    .name:           naive_conv_ab_packed_bwd_nhwc_ushort_double_ushort
    .private_segment_fixed_size: 0
    .sgpr_count:     74
    .sgpr_spill_count: 0
    .symbol:         naive_conv_ab_packed_bwd_nhwc_ushort_double_ushort.kd
    .uniform_work_group_size: 1
    .uses_dynamic_stack: false
    .vgpr_count:     27
    .vgpr_spill_count: 0
    .wavefront_size: 64
  - .args:
      - .address_space:  global
        .offset:         0
        .size:           8
        .value_kind:     global_buffer
      - .actual_access:  read_only
        .address_space:  global
        .offset:         8
        .size:           8
        .value_kind:     global_buffer
      - .offset:         16
        .size:           8
        .value_kind:     by_value
      - .offset:         24
        .size:           8
        .value_kind:     by_value
      - .actual_access:  read_only
        .address_space:  global
        .offset:         32
        .size:           8
        .value_kind:     global_buffer
      - .offset:         40
        .size:           40
        .value_kind:     by_value
      - .offset:         80
        .size:           40
        .value_kind:     by_value
      - .offset:         120
        .size:           40
        .value_kind:     by_value
      - .offset:         160
        .size:           4
        .value_kind:     by_value
      - .offset:         164
        .size:           4
        .value_kind:     by_value
      - .offset:         168
        .size:           4
        .value_kind:     by_value
      - .offset:         172
        .size:           4
        .value_kind:     by_value
      - .offset:         176
        .size:           4
        .value_kind:     by_value
      - .offset:         180
        .size:           4
        .value_kind:     by_value
      - .offset:         184
        .size:           4
        .value_kind:     by_value
      - .offset:         188
        .size:           4
        .value_kind:     by_value
      - .offset:         192
        .size:           4
        .value_kind:     by_value
      - .offset:         196
        .size:           4
        .value_kind:     by_value
      - .offset:         200
        .size:           4
        .value_kind:     by_value
      - .offset:         204
        .size:           4
        .value_kind:     by_value
      - .offset:         208
        .size:           4
        .value_kind:     by_value
      - .offset:         212
        .size:           4
        .value_kind:     by_value
      - .offset:         216
        .size:           4
        .value_kind:     by_value
      - .offset:         220
        .size:           4
        .value_kind:     by_value
      - .offset:         224
        .size:           4
        .value_kind:     hidden_block_count_x
      - .offset:         228
        .size:           4
        .value_kind:     hidden_block_count_y
      - .offset:         232
        .size:           4
        .value_kind:     hidden_block_count_z
      - .offset:         236
        .size:           2
        .value_kind:     hidden_group_size_x
      - .offset:         238
        .size:           2
        .value_kind:     hidden_group_size_y
      - .offset:         240
        .size:           2
        .value_kind:     hidden_group_size_z
      - .offset:         242
        .size:           2
        .value_kind:     hidden_remainder_x
      - .offset:         244
        .size:           2
        .value_kind:     hidden_remainder_y
      - .offset:         246
        .size:           2
        .value_kind:     hidden_remainder_z
      - .offset:         264
        .size:           8
        .value_kind:     hidden_global_offset_x
      - .offset:         272
        .size:           8
        .value_kind:     hidden_global_offset_y
      - .offset:         280
        .size:           8
        .value_kind:     hidden_global_offset_z
      - .offset:         288
        .size:           2
        .value_kind:     hidden_grid_dims
    .group_segment_fixed_size: 0
    .kernarg_segment_align: 8
    .kernarg_segment_size: 480
    .language:       OpenCL C
    .language_version:
      - 2
      - 0
    .max_flat_workgroup_size: 1024
    .name:           naive_conv_ab_nonpacked_bwd_nhwc_ushort_double_ushort
    .private_segment_fixed_size: 0
    .sgpr_count:     82
    .sgpr_spill_count: 0
    .symbol:         naive_conv_ab_nonpacked_bwd_nhwc_ushort_double_ushort.kd
    .uniform_work_group_size: 1
    .uses_dynamic_stack: false
    .vgpr_count:     29
    .vgpr_spill_count: 0
    .wavefront_size: 64
  - .args:
      - .actual_access:  read_only
        .address_space:  global
        .offset:         0
        .size:           8
        .value_kind:     global_buffer
      - .address_space:  global
        .offset:         8
        .size:           8
        .value_kind:     global_buffer
      - .offset:         16
        .size:           8
        .value_kind:     by_value
      - .offset:         24
        .size:           8
        .value_kind:     by_value
      - .actual_access:  read_only
        .address_space:  global
        .offset:         32
        .size:           8
        .value_kind:     global_buffer
      - .offset:         40
        .size:           40
        .value_kind:     by_value
      - .offset:         80
        .size:           40
        .value_kind:     by_value
      - .offset:         120
        .size:           40
        .value_kind:     by_value
      - .offset:         160
        .size:           4
        .value_kind:     by_value
      - .offset:         164
        .size:           4
        .value_kind:     by_value
      - .offset:         168
        .size:           4
        .value_kind:     by_value
      - .offset:         172
        .size:           4
        .value_kind:     by_value
      - .offset:         176
        .size:           4
        .value_kind:     by_value
      - .offset:         180
        .size:           4
        .value_kind:     by_value
      - .offset:         184
        .size:           4
        .value_kind:     by_value
      - .offset:         188
        .size:           4
        .value_kind:     by_value
      - .offset:         192
        .size:           4
        .value_kind:     by_value
      - .offset:         196
        .size:           4
        .value_kind:     by_value
      - .offset:         200
        .size:           4
        .value_kind:     by_value
      - .offset:         204
        .size:           4
        .value_kind:     by_value
      - .offset:         208
        .size:           4
        .value_kind:     by_value
      - .offset:         212
        .size:           4
        .value_kind:     by_value
      - .offset:         216
        .size:           4
        .value_kind:     by_value
      - .offset:         220
        .size:           4
        .value_kind:     by_value
      - .offset:         224
        .size:           4
        .value_kind:     hidden_block_count_x
      - .offset:         228
        .size:           4
        .value_kind:     hidden_block_count_y
      - .offset:         232
        .size:           4
        .value_kind:     hidden_block_count_z
      - .offset:         236
        .size:           2
        .value_kind:     hidden_group_size_x
      - .offset:         238
        .size:           2
        .value_kind:     hidden_group_size_y
      - .offset:         240
        .size:           2
        .value_kind:     hidden_group_size_z
      - .offset:         242
        .size:           2
        .value_kind:     hidden_remainder_x
      - .offset:         244
        .size:           2
        .value_kind:     hidden_remainder_y
      - .offset:         246
        .size:           2
        .value_kind:     hidden_remainder_z
      - .offset:         264
        .size:           8
        .value_kind:     hidden_global_offset_x
      - .offset:         272
        .size:           8
        .value_kind:     hidden_global_offset_y
      - .offset:         280
        .size:           8
        .value_kind:     hidden_global_offset_z
      - .offset:         288
        .size:           2
        .value_kind:     hidden_grid_dims
    .group_segment_fixed_size: 0
    .kernarg_segment_align: 8
    .kernarg_segment_size: 480
    .language:       OpenCL C
    .language_version:
      - 2
      - 0
    .max_flat_workgroup_size: 1024
    .name:           naive_conv_ab_packed_wrw_nchw_float_double_float
    .private_segment_fixed_size: 0
    .sgpr_count:     70
    .sgpr_spill_count: 0
    .symbol:         naive_conv_ab_packed_wrw_nchw_float_double_float.kd
    .uniform_work_group_size: 1
    .uses_dynamic_stack: false
    .vgpr_count:     22
    .vgpr_spill_count: 0
    .wavefront_size: 64
  - .args:
      - .actual_access:  read_only
        .address_space:  global
        .offset:         0
        .size:           8
        .value_kind:     global_buffer
      - .address_space:  global
        .offset:         8
        .size:           8
        .value_kind:     global_buffer
      - .offset:         16
        .size:           8
        .value_kind:     by_value
      - .offset:         24
        .size:           8
        .value_kind:     by_value
      - .actual_access:  read_only
        .address_space:  global
        .offset:         32
        .size:           8
        .value_kind:     global_buffer
      - .offset:         40
        .size:           40
        .value_kind:     by_value
      - .offset:         80
        .size:           40
        .value_kind:     by_value
      - .offset:         120
        .size:           40
        .value_kind:     by_value
      - .offset:         160
        .size:           4
        .value_kind:     by_value
      - .offset:         164
        .size:           4
        .value_kind:     by_value
      - .offset:         168
        .size:           4
        .value_kind:     by_value
      - .offset:         172
        .size:           4
        .value_kind:     by_value
      - .offset:         176
        .size:           4
        .value_kind:     by_value
      - .offset:         180
        .size:           4
        .value_kind:     by_value
      - .offset:         184
        .size:           4
        .value_kind:     by_value
      - .offset:         188
        .size:           4
        .value_kind:     by_value
      - .offset:         192
        .size:           4
        .value_kind:     by_value
      - .offset:         196
        .size:           4
        .value_kind:     by_value
      - .offset:         200
        .size:           4
        .value_kind:     by_value
      - .offset:         204
        .size:           4
        .value_kind:     by_value
      - .offset:         208
        .size:           4
        .value_kind:     by_value
      - .offset:         212
        .size:           4
        .value_kind:     by_value
      - .offset:         216
        .size:           4
        .value_kind:     by_value
      - .offset:         220
        .size:           4
        .value_kind:     by_value
      - .offset:         224
        .size:           4
        .value_kind:     hidden_block_count_x
      - .offset:         228
        .size:           4
        .value_kind:     hidden_block_count_y
      - .offset:         232
        .size:           4
        .value_kind:     hidden_block_count_z
      - .offset:         236
        .size:           2
        .value_kind:     hidden_group_size_x
      - .offset:         238
        .size:           2
        .value_kind:     hidden_group_size_y
      - .offset:         240
        .size:           2
        .value_kind:     hidden_group_size_z
      - .offset:         242
        .size:           2
        .value_kind:     hidden_remainder_x
      - .offset:         244
        .size:           2
        .value_kind:     hidden_remainder_y
      - .offset:         246
        .size:           2
        .value_kind:     hidden_remainder_z
      - .offset:         264
        .size:           8
        .value_kind:     hidden_global_offset_x
      - .offset:         272
        .size:           8
        .value_kind:     hidden_global_offset_y
      - .offset:         280
        .size:           8
        .value_kind:     hidden_global_offset_z
      - .offset:         288
        .size:           2
        .value_kind:     hidden_grid_dims
    .group_segment_fixed_size: 0
    .kernarg_segment_align: 8
    .kernarg_segment_size: 480
    .language:       OpenCL C
    .language_version:
      - 2
      - 0
    .max_flat_workgroup_size: 1024
    .name:           naive_conv_ab_nonpacked_wrw_nchw_float_double_float
    .private_segment_fixed_size: 0
    .sgpr_count:     80
    .sgpr_spill_count: 0
    .symbol:         naive_conv_ab_nonpacked_wrw_nchw_float_double_float.kd
    .uniform_work_group_size: 1
    .uses_dynamic_stack: false
    .vgpr_count:     23
    .vgpr_spill_count: 0
    .wavefront_size: 64
  - .args:
      - .actual_access:  read_only
        .address_space:  global
        .offset:         0
        .size:           8
        .value_kind:     global_buffer
      - .address_space:  global
        .offset:         8
        .size:           8
        .value_kind:     global_buffer
      - .offset:         16
        .size:           8
        .value_kind:     by_value
      - .offset:         24
        .size:           8
        .value_kind:     by_value
      - .actual_access:  read_only
        .address_space:  global
        .offset:         32
        .size:           8
        .value_kind:     global_buffer
      - .offset:         40
        .size:           40
        .value_kind:     by_value
      - .offset:         80
        .size:           40
        .value_kind:     by_value
      - .offset:         120
        .size:           40
        .value_kind:     by_value
      - .offset:         160
        .size:           4
        .value_kind:     by_value
      - .offset:         164
        .size:           4
        .value_kind:     by_value
      - .offset:         168
        .size:           4
        .value_kind:     by_value
      - .offset:         172
        .size:           4
        .value_kind:     by_value
      - .offset:         176
        .size:           4
        .value_kind:     by_value
      - .offset:         180
        .size:           4
        .value_kind:     by_value
      - .offset:         184
        .size:           4
        .value_kind:     by_value
      - .offset:         188
        .size:           4
        .value_kind:     by_value
      - .offset:         192
        .size:           4
        .value_kind:     by_value
      - .offset:         196
        .size:           4
        .value_kind:     by_value
      - .offset:         200
        .size:           4
        .value_kind:     by_value
      - .offset:         204
        .size:           4
        .value_kind:     by_value
      - .offset:         208
        .size:           4
        .value_kind:     by_value
      - .offset:         212
        .size:           4
        .value_kind:     by_value
      - .offset:         216
        .size:           4
        .value_kind:     by_value
      - .offset:         220
        .size:           4
        .value_kind:     by_value
      - .offset:         224
        .size:           4
        .value_kind:     hidden_block_count_x
      - .offset:         228
        .size:           4
        .value_kind:     hidden_block_count_y
      - .offset:         232
        .size:           4
        .value_kind:     hidden_block_count_z
      - .offset:         236
        .size:           2
        .value_kind:     hidden_group_size_x
      - .offset:         238
        .size:           2
        .value_kind:     hidden_group_size_y
      - .offset:         240
        .size:           2
        .value_kind:     hidden_group_size_z
      - .offset:         242
        .size:           2
        .value_kind:     hidden_remainder_x
      - .offset:         244
        .size:           2
        .value_kind:     hidden_remainder_y
      - .offset:         246
        .size:           2
        .value_kind:     hidden_remainder_z
      - .offset:         264
        .size:           8
        .value_kind:     hidden_global_offset_x
      - .offset:         272
        .size:           8
        .value_kind:     hidden_global_offset_y
      - .offset:         280
        .size:           8
        .value_kind:     hidden_global_offset_z
      - .offset:         288
        .size:           2
        .value_kind:     hidden_grid_dims
    .group_segment_fixed_size: 0
    .kernarg_segment_align: 8
    .kernarg_segment_size: 480
    .language:       OpenCL C
    .language_version:
      - 2
      - 0
    .max_flat_workgroup_size: 1024
    .name:           naive_conv_ab_packed_wrw_nchw_half_double_half
    .private_segment_fixed_size: 0
    .sgpr_count:     74
    .sgpr_spill_count: 0
    .symbol:         naive_conv_ab_packed_wrw_nchw_half_double_half.kd
    .uniform_work_group_size: 1
    .uses_dynamic_stack: false
    .vgpr_count:     24
    .vgpr_spill_count: 0
    .wavefront_size: 64
  - .args:
      - .actual_access:  read_only
        .address_space:  global
        .offset:         0
        .size:           8
        .value_kind:     global_buffer
      - .address_space:  global
        .offset:         8
        .size:           8
        .value_kind:     global_buffer
      - .offset:         16
        .size:           8
        .value_kind:     by_value
      - .offset:         24
        .size:           8
        .value_kind:     by_value
      - .actual_access:  read_only
        .address_space:  global
        .offset:         32
        .size:           8
        .value_kind:     global_buffer
      - .offset:         40
        .size:           40
        .value_kind:     by_value
      - .offset:         80
        .size:           40
        .value_kind:     by_value
      - .offset:         120
        .size:           40
        .value_kind:     by_value
      - .offset:         160
        .size:           4
        .value_kind:     by_value
      - .offset:         164
        .size:           4
        .value_kind:     by_value
      - .offset:         168
        .size:           4
        .value_kind:     by_value
      - .offset:         172
        .size:           4
        .value_kind:     by_value
      - .offset:         176
        .size:           4
        .value_kind:     by_value
      - .offset:         180
        .size:           4
        .value_kind:     by_value
      - .offset:         184
        .size:           4
        .value_kind:     by_value
      - .offset:         188
        .size:           4
        .value_kind:     by_value
      - .offset:         192
        .size:           4
        .value_kind:     by_value
      - .offset:         196
        .size:           4
        .value_kind:     by_value
      - .offset:         200
        .size:           4
        .value_kind:     by_value
      - .offset:         204
        .size:           4
        .value_kind:     by_value
      - .offset:         208
        .size:           4
        .value_kind:     by_value
      - .offset:         212
        .size:           4
        .value_kind:     by_value
      - .offset:         216
        .size:           4
        .value_kind:     by_value
      - .offset:         220
        .size:           4
        .value_kind:     by_value
      - .offset:         224
        .size:           4
        .value_kind:     hidden_block_count_x
      - .offset:         228
        .size:           4
        .value_kind:     hidden_block_count_y
      - .offset:         232
        .size:           4
        .value_kind:     hidden_block_count_z
      - .offset:         236
        .size:           2
        .value_kind:     hidden_group_size_x
      - .offset:         238
        .size:           2
        .value_kind:     hidden_group_size_y
      - .offset:         240
        .size:           2
        .value_kind:     hidden_group_size_z
      - .offset:         242
        .size:           2
        .value_kind:     hidden_remainder_x
      - .offset:         244
        .size:           2
        .value_kind:     hidden_remainder_y
      - .offset:         246
        .size:           2
        .value_kind:     hidden_remainder_z
      - .offset:         264
        .size:           8
        .value_kind:     hidden_global_offset_x
      - .offset:         272
        .size:           8
        .value_kind:     hidden_global_offset_y
      - .offset:         280
        .size:           8
        .value_kind:     hidden_global_offset_z
      - .offset:         288
        .size:           2
        .value_kind:     hidden_grid_dims
    .group_segment_fixed_size: 0
    .kernarg_segment_align: 8
    .kernarg_segment_size: 480
    .language:       OpenCL C
    .language_version:
      - 2
      - 0
    .max_flat_workgroup_size: 1024
    .name:           naive_conv_ab_nonpacked_wrw_nchw_half_double_half
    .private_segment_fixed_size: 0
    .sgpr_count:     84
    .sgpr_spill_count: 0
    .symbol:         naive_conv_ab_nonpacked_wrw_nchw_half_double_half.kd
    .uniform_work_group_size: 1
    .uses_dynamic_stack: false
    .vgpr_count:     26
    .vgpr_spill_count: 0
    .wavefront_size: 64
  - .args:
      - .actual_access:  read_only
        .address_space:  global
        .offset:         0
        .size:           8
        .value_kind:     global_buffer
      - .address_space:  global
        .offset:         8
        .size:           8
        .value_kind:     global_buffer
      - .offset:         16
        .size:           8
        .value_kind:     by_value
      - .offset:         24
        .size:           8
        .value_kind:     by_value
      - .actual_access:  read_only
        .address_space:  global
        .offset:         32
        .size:           8
        .value_kind:     global_buffer
      - .offset:         40
        .size:           40
        .value_kind:     by_value
      - .offset:         80
        .size:           40
        .value_kind:     by_value
      - .offset:         120
        .size:           40
        .value_kind:     by_value
      - .offset:         160
        .size:           4
        .value_kind:     by_value
      - .offset:         164
        .size:           4
        .value_kind:     by_value
      - .offset:         168
        .size:           4
        .value_kind:     by_value
      - .offset:         172
        .size:           4
        .value_kind:     by_value
      - .offset:         176
        .size:           4
        .value_kind:     by_value
      - .offset:         180
        .size:           4
        .value_kind:     by_value
      - .offset:         184
        .size:           4
        .value_kind:     by_value
      - .offset:         188
        .size:           4
        .value_kind:     by_value
      - .offset:         192
        .size:           4
        .value_kind:     by_value
      - .offset:         196
        .size:           4
        .value_kind:     by_value
      - .offset:         200
        .size:           4
        .value_kind:     by_value
      - .offset:         204
        .size:           4
        .value_kind:     by_value
      - .offset:         208
        .size:           4
        .value_kind:     by_value
      - .offset:         212
        .size:           4
        .value_kind:     by_value
      - .offset:         216
        .size:           4
        .value_kind:     by_value
      - .offset:         220
        .size:           4
        .value_kind:     by_value
      - .offset:         224
        .size:           4
        .value_kind:     hidden_block_count_x
      - .offset:         228
        .size:           4
        .value_kind:     hidden_block_count_y
      - .offset:         232
        .size:           4
        .value_kind:     hidden_block_count_z
      - .offset:         236
        .size:           2
        .value_kind:     hidden_group_size_x
      - .offset:         238
        .size:           2
        .value_kind:     hidden_group_size_y
      - .offset:         240
        .size:           2
        .value_kind:     hidden_group_size_z
      - .offset:         242
        .size:           2
        .value_kind:     hidden_remainder_x
      - .offset:         244
        .size:           2
        .value_kind:     hidden_remainder_y
      - .offset:         246
        .size:           2
        .value_kind:     hidden_remainder_z
      - .offset:         264
        .size:           8
        .value_kind:     hidden_global_offset_x
      - .offset:         272
        .size:           8
        .value_kind:     hidden_global_offset_y
      - .offset:         280
        .size:           8
        .value_kind:     hidden_global_offset_z
      - .offset:         288
        .size:           2
        .value_kind:     hidden_grid_dims
    .group_segment_fixed_size: 0
    .kernarg_segment_align: 8
    .kernarg_segment_size: 480
    .language:       OpenCL C
    .language_version:
      - 2
      - 0
    .max_flat_workgroup_size: 1024
    .name:           naive_conv_ab_packed_wrw_nchw_ushort_double_ushort
    .private_segment_fixed_size: 0
    .sgpr_count:     70
    .sgpr_spill_count: 0
    .symbol:         naive_conv_ab_packed_wrw_nchw_ushort_double_ushort.kd
    .uniform_work_group_size: 1
    .uses_dynamic_stack: false
    .vgpr_count:     22
    .vgpr_spill_count: 0
    .wavefront_size: 64
  - .args:
      - .actual_access:  read_only
        .address_space:  global
        .offset:         0
        .size:           8
        .value_kind:     global_buffer
      - .address_space:  global
        .offset:         8
        .size:           8
        .value_kind:     global_buffer
      - .offset:         16
        .size:           8
        .value_kind:     by_value
      - .offset:         24
        .size:           8
        .value_kind:     by_value
      - .actual_access:  read_only
        .address_space:  global
        .offset:         32
        .size:           8
        .value_kind:     global_buffer
      - .offset:         40
        .size:           40
        .value_kind:     by_value
      - .offset:         80
        .size:           40
        .value_kind:     by_value
      - .offset:         120
        .size:           40
        .value_kind:     by_value
      - .offset:         160
        .size:           4
        .value_kind:     by_value
      - .offset:         164
        .size:           4
        .value_kind:     by_value
      - .offset:         168
        .size:           4
        .value_kind:     by_value
      - .offset:         172
        .size:           4
        .value_kind:     by_value
      - .offset:         176
        .size:           4
        .value_kind:     by_value
      - .offset:         180
        .size:           4
        .value_kind:     by_value
      - .offset:         184
        .size:           4
        .value_kind:     by_value
      - .offset:         188
        .size:           4
        .value_kind:     by_value
      - .offset:         192
        .size:           4
        .value_kind:     by_value
      - .offset:         196
        .size:           4
        .value_kind:     by_value
      - .offset:         200
        .size:           4
        .value_kind:     by_value
      - .offset:         204
        .size:           4
        .value_kind:     by_value
      - .offset:         208
        .size:           4
        .value_kind:     by_value
      - .offset:         212
        .size:           4
        .value_kind:     by_value
      - .offset:         216
        .size:           4
        .value_kind:     by_value
      - .offset:         220
        .size:           4
        .value_kind:     by_value
      - .offset:         224
        .size:           4
        .value_kind:     hidden_block_count_x
      - .offset:         228
        .size:           4
        .value_kind:     hidden_block_count_y
      - .offset:         232
        .size:           4
        .value_kind:     hidden_block_count_z
      - .offset:         236
        .size:           2
        .value_kind:     hidden_group_size_x
      - .offset:         238
        .size:           2
        .value_kind:     hidden_group_size_y
      - .offset:         240
        .size:           2
        .value_kind:     hidden_group_size_z
      - .offset:         242
        .size:           2
        .value_kind:     hidden_remainder_x
      - .offset:         244
        .size:           2
        .value_kind:     hidden_remainder_y
      - .offset:         246
        .size:           2
        .value_kind:     hidden_remainder_z
      - .offset:         264
        .size:           8
        .value_kind:     hidden_global_offset_x
      - .offset:         272
        .size:           8
        .value_kind:     hidden_global_offset_y
      - .offset:         280
        .size:           8
        .value_kind:     hidden_global_offset_z
      - .offset:         288
        .size:           2
        .value_kind:     hidden_grid_dims
    .group_segment_fixed_size: 0
    .kernarg_segment_align: 8
    .kernarg_segment_size: 480
    .language:       OpenCL C
    .language_version:
      - 2
      - 0
    .max_flat_workgroup_size: 1024
    .name:           naive_conv_ab_nonpacked_wrw_nchw_ushort_double_ushort
    .private_segment_fixed_size: 0
    .sgpr_count:     80
    .sgpr_spill_count: 0
    .symbol:         naive_conv_ab_nonpacked_wrw_nchw_ushort_double_ushort.kd
    .uniform_work_group_size: 1
    .uses_dynamic_stack: false
    .vgpr_count:     24
    .vgpr_spill_count: 0
    .wavefront_size: 64
  - .args:
      - .actual_access:  read_only
        .address_space:  global
        .offset:         0
        .size:           8
        .value_kind:     global_buffer
      - .address_space:  global
        .offset:         8
        .size:           8
        .value_kind:     global_buffer
      - .offset:         16
        .size:           8
        .value_kind:     by_value
      - .offset:         24
        .size:           8
        .value_kind:     by_value
      - .actual_access:  read_only
        .address_space:  global
        .offset:         32
        .size:           8
        .value_kind:     global_buffer
      - .offset:         40
        .size:           40
        .value_kind:     by_value
      - .offset:         80
        .size:           40
        .value_kind:     by_value
      - .offset:         120
        .size:           40
        .value_kind:     by_value
      - .offset:         160
        .size:           4
        .value_kind:     by_value
      - .offset:         164
        .size:           4
        .value_kind:     by_value
      - .offset:         168
        .size:           4
        .value_kind:     by_value
      - .offset:         172
        .size:           4
        .value_kind:     by_value
      - .offset:         176
        .size:           4
        .value_kind:     by_value
      - .offset:         180
        .size:           4
        .value_kind:     by_value
      - .offset:         184
        .size:           4
        .value_kind:     by_value
      - .offset:         188
        .size:           4
        .value_kind:     by_value
      - .offset:         192
        .size:           4
        .value_kind:     by_value
      - .offset:         196
        .size:           4
        .value_kind:     by_value
      - .offset:         200
        .size:           4
        .value_kind:     by_value
      - .offset:         204
        .size:           4
        .value_kind:     by_value
      - .offset:         208
        .size:           4
        .value_kind:     by_value
      - .offset:         212
        .size:           4
        .value_kind:     by_value
      - .offset:         216
        .size:           4
        .value_kind:     by_value
      - .offset:         220
        .size:           4
        .value_kind:     by_value
      - .offset:         224
        .size:           4
        .value_kind:     hidden_block_count_x
      - .offset:         228
        .size:           4
        .value_kind:     hidden_block_count_y
      - .offset:         232
        .size:           4
        .value_kind:     hidden_block_count_z
      - .offset:         236
        .size:           2
        .value_kind:     hidden_group_size_x
      - .offset:         238
        .size:           2
        .value_kind:     hidden_group_size_y
      - .offset:         240
        .size:           2
        .value_kind:     hidden_group_size_z
      - .offset:         242
        .size:           2
        .value_kind:     hidden_remainder_x
      - .offset:         244
        .size:           2
        .value_kind:     hidden_remainder_y
      - .offset:         246
        .size:           2
        .value_kind:     hidden_remainder_z
      - .offset:         264
        .size:           8
        .value_kind:     hidden_global_offset_x
      - .offset:         272
        .size:           8
        .value_kind:     hidden_global_offset_y
      - .offset:         280
        .size:           8
        .value_kind:     hidden_global_offset_z
      - .offset:         288
        .size:           2
        .value_kind:     hidden_grid_dims
    .group_segment_fixed_size: 0
    .kernarg_segment_align: 8
    .kernarg_segment_size: 480
    .language:       OpenCL C
    .language_version:
      - 2
      - 0
    .max_flat_workgroup_size: 1024
    .name:           naive_conv_ab_packed_wrw_nhwc_float_double_float
    .private_segment_fixed_size: 0
    .sgpr_count:     74
    .sgpr_spill_count: 0
    .symbol:         naive_conv_ab_packed_wrw_nhwc_float_double_float.kd
    .uniform_work_group_size: 1
    .uses_dynamic_stack: false
    .vgpr_count:     21
    .vgpr_spill_count: 0
    .wavefront_size: 64
  - .args:
      - .actual_access:  read_only
        .address_space:  global
        .offset:         0
        .size:           8
        .value_kind:     global_buffer
      - .address_space:  global
        .offset:         8
        .size:           8
        .value_kind:     global_buffer
      - .offset:         16
        .size:           8
        .value_kind:     by_value
      - .offset:         24
        .size:           8
        .value_kind:     by_value
      - .actual_access:  read_only
        .address_space:  global
        .offset:         32
        .size:           8
        .value_kind:     global_buffer
      - .offset:         40
        .size:           40
        .value_kind:     by_value
      - .offset:         80
        .size:           40
        .value_kind:     by_value
      - .offset:         120
        .size:           40
        .value_kind:     by_value
      - .offset:         160
        .size:           4
        .value_kind:     by_value
      - .offset:         164
        .size:           4
        .value_kind:     by_value
      - .offset:         168
        .size:           4
        .value_kind:     by_value
      - .offset:         172
        .size:           4
        .value_kind:     by_value
      - .offset:         176
        .size:           4
        .value_kind:     by_value
      - .offset:         180
        .size:           4
        .value_kind:     by_value
      - .offset:         184
        .size:           4
        .value_kind:     by_value
      - .offset:         188
        .size:           4
        .value_kind:     by_value
      - .offset:         192
        .size:           4
        .value_kind:     by_value
      - .offset:         196
        .size:           4
        .value_kind:     by_value
      - .offset:         200
        .size:           4
        .value_kind:     by_value
      - .offset:         204
        .size:           4
        .value_kind:     by_value
      - .offset:         208
        .size:           4
        .value_kind:     by_value
      - .offset:         212
        .size:           4
        .value_kind:     by_value
      - .offset:         216
        .size:           4
        .value_kind:     by_value
      - .offset:         220
        .size:           4
        .value_kind:     by_value
      - .offset:         224
        .size:           4
        .value_kind:     hidden_block_count_x
      - .offset:         228
        .size:           4
        .value_kind:     hidden_block_count_y
      - .offset:         232
        .size:           4
        .value_kind:     hidden_block_count_z
      - .offset:         236
        .size:           2
        .value_kind:     hidden_group_size_x
      - .offset:         238
        .size:           2
        .value_kind:     hidden_group_size_y
      - .offset:         240
        .size:           2
        .value_kind:     hidden_group_size_z
      - .offset:         242
        .size:           2
        .value_kind:     hidden_remainder_x
      - .offset:         244
        .size:           2
        .value_kind:     hidden_remainder_y
      - .offset:         246
        .size:           2
        .value_kind:     hidden_remainder_z
      - .offset:         264
        .size:           8
        .value_kind:     hidden_global_offset_x
      - .offset:         272
        .size:           8
        .value_kind:     hidden_global_offset_y
      - .offset:         280
        .size:           8
        .value_kind:     hidden_global_offset_z
      - .offset:         288
        .size:           2
        .value_kind:     hidden_grid_dims
    .group_segment_fixed_size: 0
    .kernarg_segment_align: 8
    .kernarg_segment_size: 480
    .language:       OpenCL C
    .language_version:
      - 2
      - 0
    .max_flat_workgroup_size: 1024
    .name:           naive_conv_ab_nonpacked_wrw_nhwc_float_double_float
    .private_segment_fixed_size: 0
    .sgpr_count:     80
    .sgpr_spill_count: 0
    .symbol:         naive_conv_ab_nonpacked_wrw_nhwc_float_double_float.kd
    .uniform_work_group_size: 1
    .uses_dynamic_stack: false
    .vgpr_count:     23
    .vgpr_spill_count: 0
    .wavefront_size: 64
  - .args:
      - .actual_access:  read_only
        .address_space:  global
        .offset:         0
        .size:           8
        .value_kind:     global_buffer
      - .address_space:  global
        .offset:         8
        .size:           8
        .value_kind:     global_buffer
      - .offset:         16
        .size:           8
        .value_kind:     by_value
      - .offset:         24
        .size:           8
        .value_kind:     by_value
      - .actual_access:  read_only
        .address_space:  global
        .offset:         32
        .size:           8
        .value_kind:     global_buffer
      - .offset:         40
        .size:           40
        .value_kind:     by_value
      - .offset:         80
        .size:           40
        .value_kind:     by_value
      - .offset:         120
        .size:           40
        .value_kind:     by_value
      - .offset:         160
        .size:           4
        .value_kind:     by_value
      - .offset:         164
        .size:           4
        .value_kind:     by_value
      - .offset:         168
        .size:           4
        .value_kind:     by_value
      - .offset:         172
        .size:           4
        .value_kind:     by_value
      - .offset:         176
        .size:           4
        .value_kind:     by_value
      - .offset:         180
        .size:           4
        .value_kind:     by_value
      - .offset:         184
        .size:           4
        .value_kind:     by_value
      - .offset:         188
        .size:           4
        .value_kind:     by_value
      - .offset:         192
        .size:           4
        .value_kind:     by_value
      - .offset:         196
        .size:           4
        .value_kind:     by_value
      - .offset:         200
        .size:           4
        .value_kind:     by_value
      - .offset:         204
        .size:           4
        .value_kind:     by_value
      - .offset:         208
        .size:           4
        .value_kind:     by_value
      - .offset:         212
        .size:           4
        .value_kind:     by_value
      - .offset:         216
        .size:           4
        .value_kind:     by_value
      - .offset:         220
        .size:           4
        .value_kind:     by_value
      - .offset:         224
        .size:           4
        .value_kind:     hidden_block_count_x
      - .offset:         228
        .size:           4
        .value_kind:     hidden_block_count_y
      - .offset:         232
        .size:           4
        .value_kind:     hidden_block_count_z
      - .offset:         236
        .size:           2
        .value_kind:     hidden_group_size_x
      - .offset:         238
        .size:           2
        .value_kind:     hidden_group_size_y
      - .offset:         240
        .size:           2
        .value_kind:     hidden_group_size_z
      - .offset:         242
        .size:           2
        .value_kind:     hidden_remainder_x
      - .offset:         244
        .size:           2
        .value_kind:     hidden_remainder_y
      - .offset:         246
        .size:           2
        .value_kind:     hidden_remainder_z
      - .offset:         264
        .size:           8
        .value_kind:     hidden_global_offset_x
      - .offset:         272
        .size:           8
        .value_kind:     hidden_global_offset_y
      - .offset:         280
        .size:           8
        .value_kind:     hidden_global_offset_z
      - .offset:         288
        .size:           2
        .value_kind:     hidden_grid_dims
    .group_segment_fixed_size: 0
    .kernarg_segment_align: 8
    .kernarg_segment_size: 480
    .language:       OpenCL C
    .language_version:
      - 2
      - 0
    .max_flat_workgroup_size: 1024
    .name:           naive_conv_ab_packed_wrw_nhwc_half_double_half
    .private_segment_fixed_size: 0
    .sgpr_count:     78
    .sgpr_spill_count: 0
    .symbol:         naive_conv_ab_packed_wrw_nhwc_half_double_half.kd
    .uniform_work_group_size: 1
    .uses_dynamic_stack: false
    .vgpr_count:     24
    .vgpr_spill_count: 0
    .wavefront_size: 64
  - .args:
      - .actual_access:  read_only
        .address_space:  global
        .offset:         0
        .size:           8
        .value_kind:     global_buffer
      - .address_space:  global
        .offset:         8
        .size:           8
        .value_kind:     global_buffer
      - .offset:         16
        .size:           8
        .value_kind:     by_value
      - .offset:         24
        .size:           8
        .value_kind:     by_value
      - .actual_access:  read_only
        .address_space:  global
        .offset:         32
        .size:           8
        .value_kind:     global_buffer
      - .offset:         40
        .size:           40
        .value_kind:     by_value
      - .offset:         80
        .size:           40
        .value_kind:     by_value
      - .offset:         120
        .size:           40
        .value_kind:     by_value
      - .offset:         160
        .size:           4
        .value_kind:     by_value
      - .offset:         164
        .size:           4
        .value_kind:     by_value
      - .offset:         168
        .size:           4
        .value_kind:     by_value
      - .offset:         172
        .size:           4
        .value_kind:     by_value
      - .offset:         176
        .size:           4
        .value_kind:     by_value
      - .offset:         180
        .size:           4
        .value_kind:     by_value
      - .offset:         184
        .size:           4
        .value_kind:     by_value
      - .offset:         188
        .size:           4
        .value_kind:     by_value
      - .offset:         192
        .size:           4
        .value_kind:     by_value
      - .offset:         196
        .size:           4
        .value_kind:     by_value
      - .offset:         200
        .size:           4
        .value_kind:     by_value
      - .offset:         204
        .size:           4
        .value_kind:     by_value
      - .offset:         208
        .size:           4
        .value_kind:     by_value
      - .offset:         212
        .size:           4
        .value_kind:     by_value
      - .offset:         216
        .size:           4
        .value_kind:     by_value
      - .offset:         220
        .size:           4
        .value_kind:     by_value
      - .offset:         224
        .size:           4
        .value_kind:     hidden_block_count_x
      - .offset:         228
        .size:           4
        .value_kind:     hidden_block_count_y
      - .offset:         232
        .size:           4
        .value_kind:     hidden_block_count_z
      - .offset:         236
        .size:           2
        .value_kind:     hidden_group_size_x
      - .offset:         238
        .size:           2
        .value_kind:     hidden_group_size_y
      - .offset:         240
        .size:           2
        .value_kind:     hidden_group_size_z
      - .offset:         242
        .size:           2
        .value_kind:     hidden_remainder_x
      - .offset:         244
        .size:           2
        .value_kind:     hidden_remainder_y
      - .offset:         246
        .size:           2
        .value_kind:     hidden_remainder_z
      - .offset:         264
        .size:           8
        .value_kind:     hidden_global_offset_x
      - .offset:         272
        .size:           8
        .value_kind:     hidden_global_offset_y
      - .offset:         280
        .size:           8
        .value_kind:     hidden_global_offset_z
      - .offset:         288
        .size:           2
        .value_kind:     hidden_grid_dims
    .group_segment_fixed_size: 0
    .kernarg_segment_align: 8
    .kernarg_segment_size: 480
    .language:       OpenCL C
    .language_version:
      - 2
      - 0
    .max_flat_workgroup_size: 1024
    .name:           naive_conv_ab_nonpacked_wrw_nhwc_half_double_half
    .private_segment_fixed_size: 0
    .sgpr_count:     84
    .sgpr_spill_count: 0
    .symbol:         naive_conv_ab_nonpacked_wrw_nhwc_half_double_half.kd
    .uniform_work_group_size: 1
    .uses_dynamic_stack: false
    .vgpr_count:     26
    .vgpr_spill_count: 0
    .wavefront_size: 64
  - .args:
      - .actual_access:  read_only
        .address_space:  global
        .offset:         0
        .size:           8
        .value_kind:     global_buffer
      - .address_space:  global
        .offset:         8
        .size:           8
        .value_kind:     global_buffer
      - .offset:         16
        .size:           8
        .value_kind:     by_value
      - .offset:         24
        .size:           8
        .value_kind:     by_value
      - .actual_access:  read_only
        .address_space:  global
        .offset:         32
        .size:           8
        .value_kind:     global_buffer
      - .offset:         40
        .size:           40
        .value_kind:     by_value
      - .offset:         80
        .size:           40
        .value_kind:     by_value
      - .offset:         120
        .size:           40
        .value_kind:     by_value
      - .offset:         160
        .size:           4
        .value_kind:     by_value
      - .offset:         164
        .size:           4
        .value_kind:     by_value
      - .offset:         168
        .size:           4
        .value_kind:     by_value
      - .offset:         172
        .size:           4
        .value_kind:     by_value
      - .offset:         176
        .size:           4
        .value_kind:     by_value
      - .offset:         180
        .size:           4
        .value_kind:     by_value
      - .offset:         184
        .size:           4
        .value_kind:     by_value
      - .offset:         188
        .size:           4
        .value_kind:     by_value
      - .offset:         192
        .size:           4
        .value_kind:     by_value
      - .offset:         196
        .size:           4
        .value_kind:     by_value
      - .offset:         200
        .size:           4
        .value_kind:     by_value
      - .offset:         204
        .size:           4
        .value_kind:     by_value
      - .offset:         208
        .size:           4
        .value_kind:     by_value
      - .offset:         212
        .size:           4
        .value_kind:     by_value
      - .offset:         216
        .size:           4
        .value_kind:     by_value
      - .offset:         220
        .size:           4
        .value_kind:     by_value
      - .offset:         224
        .size:           4
        .value_kind:     hidden_block_count_x
      - .offset:         228
        .size:           4
        .value_kind:     hidden_block_count_y
      - .offset:         232
        .size:           4
        .value_kind:     hidden_block_count_z
      - .offset:         236
        .size:           2
        .value_kind:     hidden_group_size_x
      - .offset:         238
        .size:           2
        .value_kind:     hidden_group_size_y
      - .offset:         240
        .size:           2
        .value_kind:     hidden_group_size_z
      - .offset:         242
        .size:           2
        .value_kind:     hidden_remainder_x
      - .offset:         244
        .size:           2
        .value_kind:     hidden_remainder_y
      - .offset:         246
        .size:           2
        .value_kind:     hidden_remainder_z
      - .offset:         264
        .size:           8
        .value_kind:     hidden_global_offset_x
      - .offset:         272
        .size:           8
        .value_kind:     hidden_global_offset_y
      - .offset:         280
        .size:           8
        .value_kind:     hidden_global_offset_z
      - .offset:         288
        .size:           2
        .value_kind:     hidden_grid_dims
    .group_segment_fixed_size: 0
    .kernarg_segment_align: 8
    .kernarg_segment_size: 480
    .language:       OpenCL C
    .language_version:
      - 2
      - 0
    .max_flat_workgroup_size: 1024
    .name:           naive_conv_ab_packed_wrw_nhwc_ushort_double_ushort
    .private_segment_fixed_size: 0
    .sgpr_count:     76
    .sgpr_spill_count: 0
    .symbol:         naive_conv_ab_packed_wrw_nhwc_ushort_double_ushort.kd
    .uniform_work_group_size: 1
    .uses_dynamic_stack: false
    .vgpr_count:     22
    .vgpr_spill_count: 0
    .wavefront_size: 64
  - .args:
      - .actual_access:  read_only
        .address_space:  global
        .offset:         0
        .size:           8
        .value_kind:     global_buffer
      - .address_space:  global
        .offset:         8
        .size:           8
        .value_kind:     global_buffer
      - .offset:         16
        .size:           8
        .value_kind:     by_value
      - .offset:         24
        .size:           8
        .value_kind:     by_value
      - .actual_access:  read_only
        .address_space:  global
        .offset:         32
        .size:           8
        .value_kind:     global_buffer
      - .offset:         40
        .size:           40
        .value_kind:     by_value
      - .offset:         80
        .size:           40
        .value_kind:     by_value
      - .offset:         120
        .size:           40
        .value_kind:     by_value
      - .offset:         160
        .size:           4
        .value_kind:     by_value
      - .offset:         164
        .size:           4
        .value_kind:     by_value
      - .offset:         168
        .size:           4
        .value_kind:     by_value
      - .offset:         172
        .size:           4
        .value_kind:     by_value
      - .offset:         176
        .size:           4
        .value_kind:     by_value
      - .offset:         180
        .size:           4
        .value_kind:     by_value
      - .offset:         184
        .size:           4
        .value_kind:     by_value
      - .offset:         188
        .size:           4
        .value_kind:     by_value
      - .offset:         192
        .size:           4
        .value_kind:     by_value
      - .offset:         196
        .size:           4
        .value_kind:     by_value
      - .offset:         200
        .size:           4
        .value_kind:     by_value
      - .offset:         204
        .size:           4
        .value_kind:     by_value
      - .offset:         208
        .size:           4
        .value_kind:     by_value
      - .offset:         212
        .size:           4
        .value_kind:     by_value
      - .offset:         216
        .size:           4
        .value_kind:     by_value
      - .offset:         220
        .size:           4
        .value_kind:     by_value
      - .offset:         224
        .size:           4
        .value_kind:     hidden_block_count_x
      - .offset:         228
        .size:           4
        .value_kind:     hidden_block_count_y
      - .offset:         232
        .size:           4
        .value_kind:     hidden_block_count_z
      - .offset:         236
        .size:           2
        .value_kind:     hidden_group_size_x
      - .offset:         238
        .size:           2
        .value_kind:     hidden_group_size_y
      - .offset:         240
        .size:           2
        .value_kind:     hidden_group_size_z
      - .offset:         242
        .size:           2
        .value_kind:     hidden_remainder_x
      - .offset:         244
        .size:           2
        .value_kind:     hidden_remainder_y
      - .offset:         246
        .size:           2
        .value_kind:     hidden_remainder_z
      - .offset:         264
        .size:           8
        .value_kind:     hidden_global_offset_x
      - .offset:         272
        .size:           8
        .value_kind:     hidden_global_offset_y
      - .offset:         280
        .size:           8
        .value_kind:     hidden_global_offset_z
      - .offset:         288
        .size:           2
        .value_kind:     hidden_grid_dims
    .group_segment_fixed_size: 0
    .kernarg_segment_align: 8
    .kernarg_segment_size: 480
    .language:       OpenCL C
    .language_version:
      - 2
      - 0
    .max_flat_workgroup_size: 1024
    .name:           naive_conv_ab_nonpacked_wrw_nhwc_ushort_double_ushort
    .private_segment_fixed_size: 0
    .sgpr_count:     80
    .sgpr_spill_count: 0
    .symbol:         naive_conv_ab_nonpacked_wrw_nhwc_ushort_double_ushort.kd
    .uniform_work_group_size: 1
    .uses_dynamic_stack: false
    .vgpr_count:     24
    .vgpr_spill_count: 0
    .wavefront_size: 64
  - .args:
      - .actual_access:  read_only
        .address_space:  global
        .offset:         0
        .size:           8
        .value_kind:     global_buffer
      - .actual_access:  read_only
        .address_space:  global
        .offset:         8
        .size:           8
        .value_kind:     global_buffer
      - .offset:         16
        .size:           8
        .value_kind:     by_value
      - .offset:         24
        .size:           8
        .value_kind:     by_value
      - .address_space:  global
        .offset:         32
        .size:           8
        .value_kind:     global_buffer
      - .offset:         40
        .size:           48
        .value_kind:     by_value
      - .offset:         88
        .size:           48
        .value_kind:     by_value
      - .offset:         136
        .size:           48
        .value_kind:     by_value
      - .offset:         184
        .size:           4
        .value_kind:     by_value
      - .offset:         188
        .size:           4
        .value_kind:     by_value
      - .offset:         192
        .size:           4
        .value_kind:     by_value
      - .offset:         196
        .size:           4
        .value_kind:     by_value
      - .offset:         200
        .size:           4
        .value_kind:     by_value
      - .offset:         204
        .size:           4
        .value_kind:     by_value
      - .offset:         208
        .size:           4
        .value_kind:     by_value
      - .offset:         212
        .size:           4
        .value_kind:     by_value
      - .offset:         216
        .size:           4
        .value_kind:     by_value
      - .offset:         220
        .size:           4
        .value_kind:     by_value
      - .offset:         224
        .size:           4
        .value_kind:     by_value
      - .offset:         228
        .size:           4
        .value_kind:     by_value
      - .offset:         232
        .size:           4
        .value_kind:     by_value
      - .offset:         236
        .size:           4
        .value_kind:     by_value
      - .offset:         240
        .size:           4
        .value_kind:     by_value
      - .offset:         244
        .size:           4
        .value_kind:     by_value
      - .offset:         248
        .size:           4
        .value_kind:     by_value
      - .offset:         252
        .size:           4
        .value_kind:     by_value
      - .offset:         256
        .size:           4
        .value_kind:     by_value
      - .offset:         260
        .size:           4
        .value_kind:     by_value
      - .offset:         264
        .size:           4
        .value_kind:     by_value
      - .offset:         268
        .size:           4
        .value_kind:     by_value
      - .offset:         272
        .size:           4
        .value_kind:     hidden_block_count_x
      - .offset:         276
        .size:           4
        .value_kind:     hidden_block_count_y
      - .offset:         280
        .size:           4
        .value_kind:     hidden_block_count_z
      - .offset:         284
        .size:           2
        .value_kind:     hidden_group_size_x
      - .offset:         286
        .size:           2
        .value_kind:     hidden_group_size_y
      - .offset:         288
        .size:           2
        .value_kind:     hidden_group_size_z
      - .offset:         290
        .size:           2
        .value_kind:     hidden_remainder_x
      - .offset:         292
        .size:           2
        .value_kind:     hidden_remainder_y
      - .offset:         294
        .size:           2
        .value_kind:     hidden_remainder_z
      - .offset:         312
        .size:           8
        .value_kind:     hidden_global_offset_x
      - .offset:         320
        .size:           8
        .value_kind:     hidden_global_offset_y
      - .offset:         328
        .size:           8
        .value_kind:     hidden_global_offset_z
      - .offset:         336
        .size:           2
        .value_kind:     hidden_grid_dims
    .group_segment_fixed_size: 0
    .kernarg_segment_align: 8
    .kernarg_segment_size: 528
    .language:       OpenCL C
    .language_version:
      - 2
      - 0
    .max_flat_workgroup_size: 1024
    .name:           naive_conv_ab_packed_fwd_ncdhw_float_double_float
    .private_segment_fixed_size: 0
    .sgpr_count:     84
    .sgpr_spill_count: 0
    .symbol:         naive_conv_ab_packed_fwd_ncdhw_float_double_float.kd
    .uniform_work_group_size: 1
    .uses_dynamic_stack: false
    .vgpr_count:     22
    .vgpr_spill_count: 0
    .wavefront_size: 64
  - .args:
      - .actual_access:  read_only
        .address_space:  global
        .offset:         0
        .size:           8
        .value_kind:     global_buffer
      - .actual_access:  read_only
        .address_space:  global
        .offset:         8
        .size:           8
        .value_kind:     global_buffer
      - .offset:         16
        .size:           8
        .value_kind:     by_value
      - .offset:         24
        .size:           8
        .value_kind:     by_value
      - .address_space:  global
        .offset:         32
        .size:           8
        .value_kind:     global_buffer
      - .offset:         40
        .size:           48
        .value_kind:     by_value
      - .offset:         88
        .size:           48
        .value_kind:     by_value
      - .offset:         136
        .size:           48
        .value_kind:     by_value
      - .offset:         184
        .size:           4
        .value_kind:     by_value
      - .offset:         188
        .size:           4
        .value_kind:     by_value
      - .offset:         192
        .size:           4
        .value_kind:     by_value
      - .offset:         196
        .size:           4
        .value_kind:     by_value
      - .offset:         200
        .size:           4
        .value_kind:     by_value
      - .offset:         204
        .size:           4
        .value_kind:     by_value
      - .offset:         208
        .size:           4
        .value_kind:     by_value
      - .offset:         212
        .size:           4
        .value_kind:     by_value
      - .offset:         216
        .size:           4
        .value_kind:     by_value
      - .offset:         220
        .size:           4
        .value_kind:     by_value
      - .offset:         224
        .size:           4
        .value_kind:     by_value
      - .offset:         228
        .size:           4
        .value_kind:     by_value
      - .offset:         232
        .size:           4
        .value_kind:     by_value
      - .offset:         236
        .size:           4
        .value_kind:     by_value
      - .offset:         240
        .size:           4
        .value_kind:     by_value
      - .offset:         244
        .size:           4
        .value_kind:     by_value
      - .offset:         248
        .size:           4
        .value_kind:     by_value
      - .offset:         252
        .size:           4
        .value_kind:     by_value
      - .offset:         256
        .size:           4
        .value_kind:     by_value
      - .offset:         260
        .size:           4
        .value_kind:     by_value
      - .offset:         264
        .size:           4
        .value_kind:     by_value
      - .offset:         268
        .size:           4
        .value_kind:     by_value
      - .offset:         272
        .size:           4
        .value_kind:     hidden_block_count_x
      - .offset:         276
        .size:           4
        .value_kind:     hidden_block_count_y
      - .offset:         280
        .size:           4
        .value_kind:     hidden_block_count_z
      - .offset:         284
        .size:           2
        .value_kind:     hidden_group_size_x
      - .offset:         286
        .size:           2
        .value_kind:     hidden_group_size_y
      - .offset:         288
        .size:           2
        .value_kind:     hidden_group_size_z
      - .offset:         290
        .size:           2
        .value_kind:     hidden_remainder_x
      - .offset:         292
        .size:           2
        .value_kind:     hidden_remainder_y
      - .offset:         294
        .size:           2
        .value_kind:     hidden_remainder_z
      - .offset:         312
        .size:           8
        .value_kind:     hidden_global_offset_x
      - .offset:         320
        .size:           8
        .value_kind:     hidden_global_offset_y
      - .offset:         328
        .size:           8
        .value_kind:     hidden_global_offset_z
      - .offset:         336
        .size:           2
        .value_kind:     hidden_grid_dims
    .group_segment_fixed_size: 0
    .kernarg_segment_align: 8
    .kernarg_segment_size: 528
    .language:       OpenCL C
    .language_version:
      - 2
      - 0
    .max_flat_workgroup_size: 1024
    .name:           naive_conv_ab_nonpacked_fwd_ncdhw_float_double_float
    .private_segment_fixed_size: 0
    .sgpr_count:     96
    .sgpr_spill_count: 0
    .symbol:         naive_conv_ab_nonpacked_fwd_ncdhw_float_double_float.kd
    .uniform_work_group_size: 1
    .uses_dynamic_stack: false
    .vgpr_count:     21
    .vgpr_spill_count: 0
    .wavefront_size: 64
  - .args:
      - .actual_access:  read_only
        .address_space:  global
        .offset:         0
        .size:           8
        .value_kind:     global_buffer
      - .actual_access:  read_only
        .address_space:  global
        .offset:         8
        .size:           8
        .value_kind:     global_buffer
      - .offset:         16
        .size:           8
        .value_kind:     by_value
      - .offset:         24
        .size:           8
        .value_kind:     by_value
      - .address_space:  global
        .offset:         32
        .size:           8
        .value_kind:     global_buffer
      - .offset:         40
        .size:           48
        .value_kind:     by_value
      - .offset:         88
        .size:           48
        .value_kind:     by_value
      - .offset:         136
        .size:           48
        .value_kind:     by_value
      - .offset:         184
        .size:           4
        .value_kind:     by_value
      - .offset:         188
        .size:           4
        .value_kind:     by_value
      - .offset:         192
        .size:           4
        .value_kind:     by_value
      - .offset:         196
        .size:           4
        .value_kind:     by_value
      - .offset:         200
        .size:           4
        .value_kind:     by_value
      - .offset:         204
        .size:           4
        .value_kind:     by_value
      - .offset:         208
        .size:           4
        .value_kind:     by_value
      - .offset:         212
        .size:           4
        .value_kind:     by_value
      - .offset:         216
        .size:           4
        .value_kind:     by_value
      - .offset:         220
        .size:           4
        .value_kind:     by_value
      - .offset:         224
        .size:           4
        .value_kind:     by_value
      - .offset:         228
        .size:           4
        .value_kind:     by_value
      - .offset:         232
        .size:           4
        .value_kind:     by_value
      - .offset:         236
        .size:           4
        .value_kind:     by_value
      - .offset:         240
        .size:           4
        .value_kind:     by_value
      - .offset:         244
        .size:           4
        .value_kind:     by_value
      - .offset:         248
        .size:           4
        .value_kind:     by_value
      - .offset:         252
        .size:           4
        .value_kind:     by_value
      - .offset:         256
        .size:           4
        .value_kind:     by_value
      - .offset:         260
        .size:           4
        .value_kind:     by_value
      - .offset:         264
        .size:           4
        .value_kind:     by_value
      - .offset:         268
        .size:           4
        .value_kind:     by_value
      - .offset:         272
        .size:           4
        .value_kind:     hidden_block_count_x
      - .offset:         276
        .size:           4
        .value_kind:     hidden_block_count_y
      - .offset:         280
        .size:           4
        .value_kind:     hidden_block_count_z
      - .offset:         284
        .size:           2
        .value_kind:     hidden_group_size_x
      - .offset:         286
        .size:           2
        .value_kind:     hidden_group_size_y
      - .offset:         288
        .size:           2
        .value_kind:     hidden_group_size_z
      - .offset:         290
        .size:           2
        .value_kind:     hidden_remainder_x
      - .offset:         292
        .size:           2
        .value_kind:     hidden_remainder_y
      - .offset:         294
        .size:           2
        .value_kind:     hidden_remainder_z
      - .offset:         312
        .size:           8
        .value_kind:     hidden_global_offset_x
      - .offset:         320
        .size:           8
        .value_kind:     hidden_global_offset_y
      - .offset:         328
        .size:           8
        .value_kind:     hidden_global_offset_z
      - .offset:         336
        .size:           2
        .value_kind:     hidden_grid_dims
    .group_segment_fixed_size: 0
    .kernarg_segment_align: 8
    .kernarg_segment_size: 528
    .language:       OpenCL C
    .language_version:
      - 2
      - 0
    .max_flat_workgroup_size: 1024
    .name:           naive_conv_ab_packed_fwd_ncdhw_half_double_half
    .private_segment_fixed_size: 0
    .sgpr_count:     88
    .sgpr_spill_count: 0
    .symbol:         naive_conv_ab_packed_fwd_ncdhw_half_double_half.kd
    .uniform_work_group_size: 1
    .uses_dynamic_stack: false
    .vgpr_count:     24
    .vgpr_spill_count: 0
    .wavefront_size: 64
  - .args:
      - .actual_access:  read_only
        .address_space:  global
        .offset:         0
        .size:           8
        .value_kind:     global_buffer
      - .actual_access:  read_only
        .address_space:  global
        .offset:         8
        .size:           8
        .value_kind:     global_buffer
      - .offset:         16
        .size:           8
        .value_kind:     by_value
      - .offset:         24
        .size:           8
        .value_kind:     by_value
      - .address_space:  global
        .offset:         32
        .size:           8
        .value_kind:     global_buffer
      - .offset:         40
        .size:           48
        .value_kind:     by_value
      - .offset:         88
        .size:           48
        .value_kind:     by_value
      - .offset:         136
        .size:           48
        .value_kind:     by_value
      - .offset:         184
        .size:           4
        .value_kind:     by_value
      - .offset:         188
        .size:           4
        .value_kind:     by_value
      - .offset:         192
        .size:           4
        .value_kind:     by_value
      - .offset:         196
        .size:           4
        .value_kind:     by_value
      - .offset:         200
        .size:           4
        .value_kind:     by_value
      - .offset:         204
        .size:           4
        .value_kind:     by_value
      - .offset:         208
        .size:           4
        .value_kind:     by_value
      - .offset:         212
        .size:           4
        .value_kind:     by_value
      - .offset:         216
        .size:           4
        .value_kind:     by_value
      - .offset:         220
        .size:           4
        .value_kind:     by_value
      - .offset:         224
        .size:           4
        .value_kind:     by_value
      - .offset:         228
        .size:           4
        .value_kind:     by_value
      - .offset:         232
        .size:           4
        .value_kind:     by_value
      - .offset:         236
        .size:           4
        .value_kind:     by_value
      - .offset:         240
        .size:           4
        .value_kind:     by_value
      - .offset:         244
        .size:           4
        .value_kind:     by_value
      - .offset:         248
        .size:           4
        .value_kind:     by_value
      - .offset:         252
        .size:           4
        .value_kind:     by_value
      - .offset:         256
        .size:           4
        .value_kind:     by_value
      - .offset:         260
        .size:           4
        .value_kind:     by_value
      - .offset:         264
        .size:           4
        .value_kind:     by_value
      - .offset:         268
        .size:           4
        .value_kind:     by_value
      - .offset:         272
        .size:           4
        .value_kind:     hidden_block_count_x
      - .offset:         276
        .size:           4
        .value_kind:     hidden_block_count_y
      - .offset:         280
        .size:           4
        .value_kind:     hidden_block_count_z
      - .offset:         284
        .size:           2
        .value_kind:     hidden_group_size_x
      - .offset:         286
        .size:           2
        .value_kind:     hidden_group_size_y
      - .offset:         288
        .size:           2
        .value_kind:     hidden_group_size_z
      - .offset:         290
        .size:           2
        .value_kind:     hidden_remainder_x
      - .offset:         292
        .size:           2
        .value_kind:     hidden_remainder_y
      - .offset:         294
        .size:           2
        .value_kind:     hidden_remainder_z
      - .offset:         312
        .size:           8
        .value_kind:     hidden_global_offset_x
      - .offset:         320
        .size:           8
        .value_kind:     hidden_global_offset_y
      - .offset:         328
        .size:           8
        .value_kind:     hidden_global_offset_z
      - .offset:         336
        .size:           2
        .value_kind:     hidden_grid_dims
    .group_segment_fixed_size: 0
    .kernarg_segment_align: 8
    .kernarg_segment_size: 528
    .language:       OpenCL C
    .language_version:
      - 2
      - 0
    .max_flat_workgroup_size: 1024
    .name:           naive_conv_ab_nonpacked_fwd_ncdhw_half_double_half
    .private_segment_fixed_size: 0
    .sgpr_count:     100
    .sgpr_spill_count: 0
    .symbol:         naive_conv_ab_nonpacked_fwd_ncdhw_half_double_half.kd
    .uniform_work_group_size: 1
    .uses_dynamic_stack: false
    .vgpr_count:     24
    .vgpr_spill_count: 0
    .wavefront_size: 64
  - .args:
      - .actual_access:  read_only
        .address_space:  global
        .offset:         0
        .size:           8
        .value_kind:     global_buffer
      - .actual_access:  read_only
        .address_space:  global
        .offset:         8
        .size:           8
        .value_kind:     global_buffer
      - .offset:         16
        .size:           8
        .value_kind:     by_value
      - .offset:         24
        .size:           8
        .value_kind:     by_value
      - .address_space:  global
        .offset:         32
        .size:           8
        .value_kind:     global_buffer
      - .offset:         40
        .size:           48
        .value_kind:     by_value
      - .offset:         88
        .size:           48
        .value_kind:     by_value
      - .offset:         136
        .size:           48
        .value_kind:     by_value
      - .offset:         184
        .size:           4
        .value_kind:     by_value
      - .offset:         188
        .size:           4
        .value_kind:     by_value
      - .offset:         192
        .size:           4
        .value_kind:     by_value
      - .offset:         196
        .size:           4
        .value_kind:     by_value
      - .offset:         200
        .size:           4
        .value_kind:     by_value
      - .offset:         204
        .size:           4
        .value_kind:     by_value
      - .offset:         208
        .size:           4
        .value_kind:     by_value
      - .offset:         212
        .size:           4
        .value_kind:     by_value
      - .offset:         216
        .size:           4
        .value_kind:     by_value
      - .offset:         220
        .size:           4
        .value_kind:     by_value
      - .offset:         224
        .size:           4
        .value_kind:     by_value
      - .offset:         228
        .size:           4
        .value_kind:     by_value
      - .offset:         232
        .size:           4
        .value_kind:     by_value
      - .offset:         236
        .size:           4
        .value_kind:     by_value
      - .offset:         240
        .size:           4
        .value_kind:     by_value
      - .offset:         244
        .size:           4
        .value_kind:     by_value
      - .offset:         248
        .size:           4
        .value_kind:     by_value
      - .offset:         252
        .size:           4
        .value_kind:     by_value
      - .offset:         256
        .size:           4
        .value_kind:     by_value
      - .offset:         260
        .size:           4
        .value_kind:     by_value
      - .offset:         264
        .size:           4
        .value_kind:     by_value
      - .offset:         268
        .size:           4
        .value_kind:     by_value
      - .offset:         272
        .size:           4
        .value_kind:     hidden_block_count_x
      - .offset:         276
        .size:           4
        .value_kind:     hidden_block_count_y
      - .offset:         280
        .size:           4
        .value_kind:     hidden_block_count_z
      - .offset:         284
        .size:           2
        .value_kind:     hidden_group_size_x
      - .offset:         286
        .size:           2
        .value_kind:     hidden_group_size_y
      - .offset:         288
        .size:           2
        .value_kind:     hidden_group_size_z
      - .offset:         290
        .size:           2
        .value_kind:     hidden_remainder_x
      - .offset:         292
        .size:           2
        .value_kind:     hidden_remainder_y
      - .offset:         294
        .size:           2
        .value_kind:     hidden_remainder_z
      - .offset:         312
        .size:           8
        .value_kind:     hidden_global_offset_x
      - .offset:         320
        .size:           8
        .value_kind:     hidden_global_offset_y
      - .offset:         328
        .size:           8
        .value_kind:     hidden_global_offset_z
      - .offset:         336
        .size:           2
        .value_kind:     hidden_grid_dims
    .group_segment_fixed_size: 0
    .kernarg_segment_align: 8
    .kernarg_segment_size: 528
    .language:       OpenCL C
    .language_version:
      - 2
      - 0
    .max_flat_workgroup_size: 1024
    .name:           naive_conv_ab_packed_fwd_ncdhw_ushort_double_ushort
    .private_segment_fixed_size: 0
    .sgpr_count:     84
    .sgpr_spill_count: 0
    .symbol:         naive_conv_ab_packed_fwd_ncdhw_ushort_double_ushort.kd
    .uniform_work_group_size: 1
    .uses_dynamic_stack: false
    .vgpr_count:     22
    .vgpr_spill_count: 0
    .wavefront_size: 64
  - .args:
      - .actual_access:  read_only
        .address_space:  global
        .offset:         0
        .size:           8
        .value_kind:     global_buffer
      - .actual_access:  read_only
        .address_space:  global
        .offset:         8
        .size:           8
        .value_kind:     global_buffer
      - .offset:         16
        .size:           8
        .value_kind:     by_value
      - .offset:         24
        .size:           8
        .value_kind:     by_value
      - .address_space:  global
        .offset:         32
        .size:           8
        .value_kind:     global_buffer
      - .offset:         40
        .size:           48
        .value_kind:     by_value
      - .offset:         88
        .size:           48
        .value_kind:     by_value
      - .offset:         136
        .size:           48
        .value_kind:     by_value
      - .offset:         184
        .size:           4
        .value_kind:     by_value
      - .offset:         188
        .size:           4
        .value_kind:     by_value
      - .offset:         192
        .size:           4
        .value_kind:     by_value
      - .offset:         196
        .size:           4
        .value_kind:     by_value
      - .offset:         200
        .size:           4
        .value_kind:     by_value
      - .offset:         204
        .size:           4
        .value_kind:     by_value
      - .offset:         208
        .size:           4
        .value_kind:     by_value
      - .offset:         212
        .size:           4
        .value_kind:     by_value
      - .offset:         216
        .size:           4
        .value_kind:     by_value
      - .offset:         220
        .size:           4
        .value_kind:     by_value
      - .offset:         224
        .size:           4
        .value_kind:     by_value
      - .offset:         228
        .size:           4
        .value_kind:     by_value
      - .offset:         232
        .size:           4
        .value_kind:     by_value
      - .offset:         236
        .size:           4
        .value_kind:     by_value
      - .offset:         240
        .size:           4
        .value_kind:     by_value
      - .offset:         244
        .size:           4
        .value_kind:     by_value
      - .offset:         248
        .size:           4
        .value_kind:     by_value
      - .offset:         252
        .size:           4
        .value_kind:     by_value
      - .offset:         256
        .size:           4
        .value_kind:     by_value
      - .offset:         260
        .size:           4
        .value_kind:     by_value
      - .offset:         264
        .size:           4
        .value_kind:     by_value
      - .offset:         268
        .size:           4
        .value_kind:     by_value
      - .offset:         272
        .size:           4
        .value_kind:     hidden_block_count_x
      - .offset:         276
        .size:           4
        .value_kind:     hidden_block_count_y
      - .offset:         280
        .size:           4
        .value_kind:     hidden_block_count_z
      - .offset:         284
        .size:           2
        .value_kind:     hidden_group_size_x
      - .offset:         286
        .size:           2
        .value_kind:     hidden_group_size_y
      - .offset:         288
        .size:           2
        .value_kind:     hidden_group_size_z
      - .offset:         290
        .size:           2
        .value_kind:     hidden_remainder_x
      - .offset:         292
        .size:           2
        .value_kind:     hidden_remainder_y
      - .offset:         294
        .size:           2
        .value_kind:     hidden_remainder_z
      - .offset:         312
        .size:           8
        .value_kind:     hidden_global_offset_x
      - .offset:         320
        .size:           8
        .value_kind:     hidden_global_offset_y
      - .offset:         328
        .size:           8
        .value_kind:     hidden_global_offset_z
      - .offset:         336
        .size:           2
        .value_kind:     hidden_grid_dims
    .group_segment_fixed_size: 0
    .kernarg_segment_align: 8
    .kernarg_segment_size: 528
    .language:       OpenCL C
    .language_version:
      - 2
      - 0
    .max_flat_workgroup_size: 1024
    .name:           naive_conv_ab_nonpacked_fwd_ncdhw_ushort_double_ushort
    .private_segment_fixed_size: 0
    .sgpr_count:     96
    .sgpr_spill_count: 0
    .symbol:         naive_conv_ab_nonpacked_fwd_ncdhw_ushort_double_ushort.kd
    .uniform_work_group_size: 1
    .uses_dynamic_stack: false
    .vgpr_count:     22
    .vgpr_spill_count: 0
    .wavefront_size: 64
  - .args:
      - .actual_access:  read_only
        .address_space:  global
        .offset:         0
        .size:           8
        .value_kind:     global_buffer
      - .actual_access:  read_only
        .address_space:  global
        .offset:         8
        .size:           8
        .value_kind:     global_buffer
      - .offset:         16
        .size:           8
        .value_kind:     by_value
      - .offset:         24
        .size:           8
        .value_kind:     by_value
      - .address_space:  global
        .offset:         32
        .size:           8
        .value_kind:     global_buffer
      - .offset:         40
        .size:           48
        .value_kind:     by_value
      - .offset:         88
        .size:           48
        .value_kind:     by_value
      - .offset:         136
        .size:           48
        .value_kind:     by_value
      - .offset:         184
        .size:           4
        .value_kind:     by_value
      - .offset:         188
        .size:           4
        .value_kind:     by_value
      - .offset:         192
        .size:           4
        .value_kind:     by_value
      - .offset:         196
        .size:           4
        .value_kind:     by_value
      - .offset:         200
        .size:           4
        .value_kind:     by_value
      - .offset:         204
        .size:           4
        .value_kind:     by_value
      - .offset:         208
        .size:           4
        .value_kind:     by_value
      - .offset:         212
        .size:           4
        .value_kind:     by_value
      - .offset:         216
        .size:           4
        .value_kind:     by_value
      - .offset:         220
        .size:           4
        .value_kind:     by_value
      - .offset:         224
        .size:           4
        .value_kind:     by_value
      - .offset:         228
        .size:           4
        .value_kind:     by_value
      - .offset:         232
        .size:           4
        .value_kind:     by_value
      - .offset:         236
        .size:           4
        .value_kind:     by_value
      - .offset:         240
        .size:           4
        .value_kind:     by_value
      - .offset:         244
        .size:           4
        .value_kind:     by_value
      - .offset:         248
        .size:           4
        .value_kind:     by_value
      - .offset:         252
        .size:           4
        .value_kind:     by_value
      - .offset:         256
        .size:           4
        .value_kind:     by_value
      - .offset:         260
        .size:           4
        .value_kind:     by_value
      - .offset:         264
        .size:           4
        .value_kind:     by_value
      - .offset:         268
        .size:           4
        .value_kind:     by_value
      - .offset:         272
        .size:           4
        .value_kind:     hidden_block_count_x
      - .offset:         276
        .size:           4
        .value_kind:     hidden_block_count_y
      - .offset:         280
        .size:           4
        .value_kind:     hidden_block_count_z
      - .offset:         284
        .size:           2
        .value_kind:     hidden_group_size_x
      - .offset:         286
        .size:           2
        .value_kind:     hidden_group_size_y
      - .offset:         288
        .size:           2
        .value_kind:     hidden_group_size_z
      - .offset:         290
        .size:           2
        .value_kind:     hidden_remainder_x
      - .offset:         292
        .size:           2
        .value_kind:     hidden_remainder_y
      - .offset:         294
        .size:           2
        .value_kind:     hidden_remainder_z
      - .offset:         312
        .size:           8
        .value_kind:     hidden_global_offset_x
      - .offset:         320
        .size:           8
        .value_kind:     hidden_global_offset_y
      - .offset:         328
        .size:           8
        .value_kind:     hidden_global_offset_z
      - .offset:         336
        .size:           2
        .value_kind:     hidden_grid_dims
    .group_segment_fixed_size: 0
    .kernarg_segment_align: 8
    .kernarg_segment_size: 528
    .language:       OpenCL C
    .language_version:
      - 2
      - 0
    .max_flat_workgroup_size: 1024
    .name:           naive_conv_ab_packed_fwd_ncdhw_int8_t_int32_t_int32_t
    .private_segment_fixed_size: 0
    .sgpr_count:     78
    .sgpr_spill_count: 0
    .symbol:         naive_conv_ab_packed_fwd_ncdhw_int8_t_int32_t_int32_t.kd
    .uniform_work_group_size: 1
    .uses_dynamic_stack: false
    .vgpr_count:     22
    .vgpr_spill_count: 0
    .wavefront_size: 64
  - .args:
      - .actual_access:  read_only
        .address_space:  global
        .offset:         0
        .size:           8
        .value_kind:     global_buffer
      - .actual_access:  read_only
        .address_space:  global
        .offset:         8
        .size:           8
        .value_kind:     global_buffer
      - .offset:         16
        .size:           8
        .value_kind:     by_value
      - .offset:         24
        .size:           8
        .value_kind:     by_value
      - .address_space:  global
        .offset:         32
        .size:           8
        .value_kind:     global_buffer
      - .offset:         40
        .size:           48
        .value_kind:     by_value
      - .offset:         88
        .size:           48
        .value_kind:     by_value
      - .offset:         136
        .size:           48
        .value_kind:     by_value
      - .offset:         184
        .size:           4
        .value_kind:     by_value
      - .offset:         188
        .size:           4
        .value_kind:     by_value
      - .offset:         192
        .size:           4
        .value_kind:     by_value
      - .offset:         196
        .size:           4
        .value_kind:     by_value
      - .offset:         200
        .size:           4
        .value_kind:     by_value
      - .offset:         204
        .size:           4
        .value_kind:     by_value
      - .offset:         208
        .size:           4
        .value_kind:     by_value
      - .offset:         212
        .size:           4
        .value_kind:     by_value
      - .offset:         216
        .size:           4
        .value_kind:     by_value
      - .offset:         220
        .size:           4
        .value_kind:     by_value
      - .offset:         224
        .size:           4
        .value_kind:     by_value
      - .offset:         228
        .size:           4
        .value_kind:     by_value
      - .offset:         232
        .size:           4
        .value_kind:     by_value
      - .offset:         236
        .size:           4
        .value_kind:     by_value
      - .offset:         240
        .size:           4
        .value_kind:     by_value
      - .offset:         244
        .size:           4
        .value_kind:     by_value
      - .offset:         248
        .size:           4
        .value_kind:     by_value
      - .offset:         252
        .size:           4
        .value_kind:     by_value
      - .offset:         256
        .size:           4
        .value_kind:     by_value
      - .offset:         260
        .size:           4
        .value_kind:     by_value
      - .offset:         264
        .size:           4
        .value_kind:     by_value
      - .offset:         268
        .size:           4
        .value_kind:     by_value
      - .offset:         272
        .size:           4
        .value_kind:     hidden_block_count_x
      - .offset:         276
        .size:           4
        .value_kind:     hidden_block_count_y
      - .offset:         280
        .size:           4
        .value_kind:     hidden_block_count_z
      - .offset:         284
        .size:           2
        .value_kind:     hidden_group_size_x
      - .offset:         286
        .size:           2
        .value_kind:     hidden_group_size_y
      - .offset:         288
        .size:           2
        .value_kind:     hidden_group_size_z
      - .offset:         290
        .size:           2
        .value_kind:     hidden_remainder_x
      - .offset:         292
        .size:           2
        .value_kind:     hidden_remainder_y
      - .offset:         294
        .size:           2
        .value_kind:     hidden_remainder_z
      - .offset:         312
        .size:           8
        .value_kind:     hidden_global_offset_x
      - .offset:         320
        .size:           8
        .value_kind:     hidden_global_offset_y
      - .offset:         328
        .size:           8
        .value_kind:     hidden_global_offset_z
      - .offset:         336
        .size:           2
        .value_kind:     hidden_grid_dims
    .group_segment_fixed_size: 0
    .kernarg_segment_align: 8
    .kernarg_segment_size: 528
    .language:       OpenCL C
    .language_version:
      - 2
      - 0
    .max_flat_workgroup_size: 1024
    .name:           naive_conv_ab_nonpacked_fwd_ncdhw_int8_t_int32_t_int32_t
    .private_segment_fixed_size: 0
    .sgpr_count:     92
    .sgpr_spill_count: 0
    .symbol:         naive_conv_ab_nonpacked_fwd_ncdhw_int8_t_int32_t_int32_t.kd
    .uniform_work_group_size: 1
    .uses_dynamic_stack: false
    .vgpr_count:     22
    .vgpr_spill_count: 0
    .wavefront_size: 64
  - .args:
      - .actual_access:  read_only
        .address_space:  global
        .offset:         0
        .size:           8
        .value_kind:     global_buffer
      - .actual_access:  read_only
        .address_space:  global
        .offset:         8
        .size:           8
        .value_kind:     global_buffer
      - .offset:         16
        .size:           8
        .value_kind:     by_value
      - .offset:         24
        .size:           8
        .value_kind:     by_value
      - .address_space:  global
        .offset:         32
        .size:           8
        .value_kind:     global_buffer
      - .offset:         40
        .size:           48
        .value_kind:     by_value
      - .offset:         88
        .size:           48
        .value_kind:     by_value
      - .offset:         136
        .size:           48
        .value_kind:     by_value
      - .offset:         184
        .size:           4
        .value_kind:     by_value
      - .offset:         188
        .size:           4
        .value_kind:     by_value
      - .offset:         192
        .size:           4
        .value_kind:     by_value
      - .offset:         196
        .size:           4
        .value_kind:     by_value
      - .offset:         200
        .size:           4
        .value_kind:     by_value
      - .offset:         204
        .size:           4
        .value_kind:     by_value
      - .offset:         208
        .size:           4
        .value_kind:     by_value
      - .offset:         212
        .size:           4
        .value_kind:     by_value
      - .offset:         216
        .size:           4
        .value_kind:     by_value
      - .offset:         220
        .size:           4
        .value_kind:     by_value
      - .offset:         224
        .size:           4
        .value_kind:     by_value
      - .offset:         228
        .size:           4
        .value_kind:     by_value
      - .offset:         232
        .size:           4
        .value_kind:     by_value
      - .offset:         236
        .size:           4
        .value_kind:     by_value
      - .offset:         240
        .size:           4
        .value_kind:     by_value
      - .offset:         244
        .size:           4
        .value_kind:     by_value
      - .offset:         248
        .size:           4
        .value_kind:     by_value
      - .offset:         252
        .size:           4
        .value_kind:     by_value
      - .offset:         256
        .size:           4
        .value_kind:     by_value
      - .offset:         260
        .size:           4
        .value_kind:     by_value
      - .offset:         264
        .size:           4
        .value_kind:     by_value
      - .offset:         268
        .size:           4
        .value_kind:     by_value
      - .offset:         272
        .size:           4
        .value_kind:     hidden_block_count_x
      - .offset:         276
        .size:           4
        .value_kind:     hidden_block_count_y
      - .offset:         280
        .size:           4
        .value_kind:     hidden_block_count_z
      - .offset:         284
        .size:           2
        .value_kind:     hidden_group_size_x
      - .offset:         286
        .size:           2
        .value_kind:     hidden_group_size_y
      - .offset:         288
        .size:           2
        .value_kind:     hidden_group_size_z
      - .offset:         290
        .size:           2
        .value_kind:     hidden_remainder_x
      - .offset:         292
        .size:           2
        .value_kind:     hidden_remainder_y
      - .offset:         294
        .size:           2
        .value_kind:     hidden_remainder_z
      - .offset:         312
        .size:           8
        .value_kind:     hidden_global_offset_x
      - .offset:         320
        .size:           8
        .value_kind:     hidden_global_offset_y
      - .offset:         328
        .size:           8
        .value_kind:     hidden_global_offset_z
      - .offset:         336
        .size:           2
        .value_kind:     hidden_grid_dims
    .group_segment_fixed_size: 0
    .kernarg_segment_align: 8
    .kernarg_segment_size: 528
    .language:       OpenCL C
    .language_version:
      - 2
      - 0
    .max_flat_workgroup_size: 1024
    .name:           naive_conv_ab_packed_fwd_ncdhw_int8_t_int32_t_float
    .private_segment_fixed_size: 0
    .sgpr_count:     78
    .sgpr_spill_count: 0
    .symbol:         naive_conv_ab_packed_fwd_ncdhw_int8_t_int32_t_float.kd
    .uniform_work_group_size: 1
    .uses_dynamic_stack: false
    .vgpr_count:     22
    .vgpr_spill_count: 0
    .wavefront_size: 64
  - .args:
      - .actual_access:  read_only
        .address_space:  global
        .offset:         0
        .size:           8
        .value_kind:     global_buffer
      - .actual_access:  read_only
        .address_space:  global
        .offset:         8
        .size:           8
        .value_kind:     global_buffer
      - .offset:         16
        .size:           8
        .value_kind:     by_value
      - .offset:         24
        .size:           8
        .value_kind:     by_value
      - .address_space:  global
        .offset:         32
        .size:           8
        .value_kind:     global_buffer
      - .offset:         40
        .size:           48
        .value_kind:     by_value
      - .offset:         88
        .size:           48
        .value_kind:     by_value
      - .offset:         136
        .size:           48
        .value_kind:     by_value
      - .offset:         184
        .size:           4
        .value_kind:     by_value
      - .offset:         188
        .size:           4
        .value_kind:     by_value
      - .offset:         192
        .size:           4
        .value_kind:     by_value
      - .offset:         196
        .size:           4
        .value_kind:     by_value
      - .offset:         200
        .size:           4
        .value_kind:     by_value
      - .offset:         204
        .size:           4
        .value_kind:     by_value
      - .offset:         208
        .size:           4
        .value_kind:     by_value
      - .offset:         212
        .size:           4
        .value_kind:     by_value
      - .offset:         216
        .size:           4
        .value_kind:     by_value
      - .offset:         220
        .size:           4
        .value_kind:     by_value
      - .offset:         224
        .size:           4
        .value_kind:     by_value
      - .offset:         228
        .size:           4
        .value_kind:     by_value
      - .offset:         232
        .size:           4
        .value_kind:     by_value
      - .offset:         236
        .size:           4
        .value_kind:     by_value
      - .offset:         240
        .size:           4
        .value_kind:     by_value
      - .offset:         244
        .size:           4
        .value_kind:     by_value
      - .offset:         248
        .size:           4
        .value_kind:     by_value
      - .offset:         252
        .size:           4
        .value_kind:     by_value
      - .offset:         256
        .size:           4
        .value_kind:     by_value
      - .offset:         260
        .size:           4
        .value_kind:     by_value
      - .offset:         264
        .size:           4
        .value_kind:     by_value
      - .offset:         268
        .size:           4
        .value_kind:     by_value
      - .offset:         272
        .size:           4
        .value_kind:     hidden_block_count_x
      - .offset:         276
        .size:           4
        .value_kind:     hidden_block_count_y
      - .offset:         280
        .size:           4
        .value_kind:     hidden_block_count_z
      - .offset:         284
        .size:           2
        .value_kind:     hidden_group_size_x
      - .offset:         286
        .size:           2
        .value_kind:     hidden_group_size_y
      - .offset:         288
        .size:           2
        .value_kind:     hidden_group_size_z
      - .offset:         290
        .size:           2
        .value_kind:     hidden_remainder_x
      - .offset:         292
        .size:           2
        .value_kind:     hidden_remainder_y
      - .offset:         294
        .size:           2
        .value_kind:     hidden_remainder_z
      - .offset:         312
        .size:           8
        .value_kind:     hidden_global_offset_x
      - .offset:         320
        .size:           8
        .value_kind:     hidden_global_offset_y
      - .offset:         328
        .size:           8
        .value_kind:     hidden_global_offset_z
      - .offset:         336
        .size:           2
        .value_kind:     hidden_grid_dims
    .group_segment_fixed_size: 0
    .kernarg_segment_align: 8
    .kernarg_segment_size: 528
    .language:       OpenCL C
    .language_version:
      - 2
      - 0
    .max_flat_workgroup_size: 1024
    .name:           naive_conv_ab_nonpacked_fwd_ncdhw_int8_t_int32_t_float
    .private_segment_fixed_size: 0
    .sgpr_count:     92
    .sgpr_spill_count: 0
    .symbol:         naive_conv_ab_nonpacked_fwd_ncdhw_int8_t_int32_t_float.kd
    .uniform_work_group_size: 1
    .uses_dynamic_stack: false
    .vgpr_count:     22
    .vgpr_spill_count: 0
    .wavefront_size: 64
  - .args:
      - .actual_access:  read_only
        .address_space:  global
        .offset:         0
        .size:           8
        .value_kind:     global_buffer
      - .actual_access:  read_only
        .address_space:  global
        .offset:         8
        .size:           8
        .value_kind:     global_buffer
      - .offset:         16
        .size:           8
        .value_kind:     by_value
      - .offset:         24
        .size:           8
        .value_kind:     by_value
      - .address_space:  global
        .offset:         32
        .size:           8
        .value_kind:     global_buffer
      - .offset:         40
        .size:           48
        .value_kind:     by_value
      - .offset:         88
        .size:           48
        .value_kind:     by_value
      - .offset:         136
        .size:           48
        .value_kind:     by_value
      - .offset:         184
        .size:           4
        .value_kind:     by_value
      - .offset:         188
        .size:           4
        .value_kind:     by_value
      - .offset:         192
        .size:           4
        .value_kind:     by_value
      - .offset:         196
        .size:           4
        .value_kind:     by_value
      - .offset:         200
        .size:           4
        .value_kind:     by_value
      - .offset:         204
        .size:           4
        .value_kind:     by_value
      - .offset:         208
        .size:           4
        .value_kind:     by_value
      - .offset:         212
        .size:           4
        .value_kind:     by_value
      - .offset:         216
        .size:           4
        .value_kind:     by_value
      - .offset:         220
        .size:           4
        .value_kind:     by_value
      - .offset:         224
        .size:           4
        .value_kind:     by_value
      - .offset:         228
        .size:           4
        .value_kind:     by_value
      - .offset:         232
        .size:           4
        .value_kind:     by_value
      - .offset:         236
        .size:           4
        .value_kind:     by_value
      - .offset:         240
        .size:           4
        .value_kind:     by_value
      - .offset:         244
        .size:           4
        .value_kind:     by_value
      - .offset:         248
        .size:           4
        .value_kind:     by_value
      - .offset:         252
        .size:           4
        .value_kind:     by_value
      - .offset:         256
        .size:           4
        .value_kind:     by_value
      - .offset:         260
        .size:           4
        .value_kind:     by_value
      - .offset:         264
        .size:           4
        .value_kind:     by_value
      - .offset:         268
        .size:           4
        .value_kind:     by_value
      - .offset:         272
        .size:           4
        .value_kind:     hidden_block_count_x
      - .offset:         276
        .size:           4
        .value_kind:     hidden_block_count_y
      - .offset:         280
        .size:           4
        .value_kind:     hidden_block_count_z
      - .offset:         284
        .size:           2
        .value_kind:     hidden_group_size_x
      - .offset:         286
        .size:           2
        .value_kind:     hidden_group_size_y
      - .offset:         288
        .size:           2
        .value_kind:     hidden_group_size_z
      - .offset:         290
        .size:           2
        .value_kind:     hidden_remainder_x
      - .offset:         292
        .size:           2
        .value_kind:     hidden_remainder_y
      - .offset:         294
        .size:           2
        .value_kind:     hidden_remainder_z
      - .offset:         312
        .size:           8
        .value_kind:     hidden_global_offset_x
      - .offset:         320
        .size:           8
        .value_kind:     hidden_global_offset_y
      - .offset:         328
        .size:           8
        .value_kind:     hidden_global_offset_z
      - .offset:         336
        .size:           2
        .value_kind:     hidden_grid_dims
    .group_segment_fixed_size: 0
    .kernarg_segment_align: 8
    .kernarg_segment_size: 528
    .language:       OpenCL C
    .language_version:
      - 2
      - 0
    .max_flat_workgroup_size: 1024
    .name:           naive_conv_ab_packed_fwd_ndhwc_float_double_float
    .private_segment_fixed_size: 0
    .sgpr_count:     84
    .sgpr_spill_count: 0
    .symbol:         naive_conv_ab_packed_fwd_ndhwc_float_double_float.kd
    .uniform_work_group_size: 1
    .uses_dynamic_stack: false
    .vgpr_count:     30
    .vgpr_spill_count: 0
    .wavefront_size: 64
  - .args:
      - .actual_access:  read_only
        .address_space:  global
        .offset:         0
        .size:           8
        .value_kind:     global_buffer
      - .actual_access:  read_only
        .address_space:  global
        .offset:         8
        .size:           8
        .value_kind:     global_buffer
      - .offset:         16
        .size:           8
        .value_kind:     by_value
      - .offset:         24
        .size:           8
        .value_kind:     by_value
      - .address_space:  global
        .offset:         32
        .size:           8
        .value_kind:     global_buffer
      - .offset:         40
        .size:           48
        .value_kind:     by_value
      - .offset:         88
        .size:           48
        .value_kind:     by_value
      - .offset:         136
        .size:           48
        .value_kind:     by_value
      - .offset:         184
        .size:           4
        .value_kind:     by_value
      - .offset:         188
        .size:           4
        .value_kind:     by_value
      - .offset:         192
        .size:           4
        .value_kind:     by_value
      - .offset:         196
        .size:           4
        .value_kind:     by_value
      - .offset:         200
        .size:           4
        .value_kind:     by_value
      - .offset:         204
        .size:           4
        .value_kind:     by_value
      - .offset:         208
        .size:           4
        .value_kind:     by_value
      - .offset:         212
        .size:           4
        .value_kind:     by_value
      - .offset:         216
        .size:           4
        .value_kind:     by_value
      - .offset:         220
        .size:           4
        .value_kind:     by_value
      - .offset:         224
        .size:           4
        .value_kind:     by_value
      - .offset:         228
        .size:           4
        .value_kind:     by_value
      - .offset:         232
        .size:           4
        .value_kind:     by_value
      - .offset:         236
        .size:           4
        .value_kind:     by_value
      - .offset:         240
        .size:           4
        .value_kind:     by_value
      - .offset:         244
        .size:           4
        .value_kind:     by_value
      - .offset:         248
        .size:           4
        .value_kind:     by_value
      - .offset:         252
        .size:           4
        .value_kind:     by_value
      - .offset:         256
        .size:           4
        .value_kind:     by_value
      - .offset:         260
        .size:           4
        .value_kind:     by_value
      - .offset:         264
        .size:           4
        .value_kind:     by_value
      - .offset:         268
        .size:           4
        .value_kind:     by_value
      - .offset:         272
        .size:           4
        .value_kind:     hidden_block_count_x
      - .offset:         276
        .size:           4
        .value_kind:     hidden_block_count_y
      - .offset:         280
        .size:           4
        .value_kind:     hidden_block_count_z
      - .offset:         284
        .size:           2
        .value_kind:     hidden_group_size_x
      - .offset:         286
        .size:           2
        .value_kind:     hidden_group_size_y
      - .offset:         288
        .size:           2
        .value_kind:     hidden_group_size_z
      - .offset:         290
        .size:           2
        .value_kind:     hidden_remainder_x
      - .offset:         292
        .size:           2
        .value_kind:     hidden_remainder_y
      - .offset:         294
        .size:           2
        .value_kind:     hidden_remainder_z
      - .offset:         312
        .size:           8
        .value_kind:     hidden_global_offset_x
      - .offset:         320
        .size:           8
        .value_kind:     hidden_global_offset_y
      - .offset:         328
        .size:           8
        .value_kind:     hidden_global_offset_z
      - .offset:         336
        .size:           2
        .value_kind:     hidden_grid_dims
    .group_segment_fixed_size: 0
    .kernarg_segment_align: 8
    .kernarg_segment_size: 528
    .language:       OpenCL C
    .language_version:
      - 2
      - 0
    .max_flat_workgroup_size: 1024
    .name:           naive_conv_ab_nonpacked_fwd_ndhwc_float_double_float
    .private_segment_fixed_size: 0
    .sgpr_count:     92
    .sgpr_spill_count: 0
    .symbol:         naive_conv_ab_nonpacked_fwd_ndhwc_float_double_float.kd
    .uniform_work_group_size: 1
    .uses_dynamic_stack: false
    .vgpr_count:     30
    .vgpr_spill_count: 0
    .wavefront_size: 64
  - .args:
      - .actual_access:  read_only
        .address_space:  global
        .offset:         0
        .size:           8
        .value_kind:     global_buffer
      - .actual_access:  read_only
        .address_space:  global
        .offset:         8
        .size:           8
        .value_kind:     global_buffer
      - .offset:         16
        .size:           8
        .value_kind:     by_value
      - .offset:         24
        .size:           8
        .value_kind:     by_value
      - .address_space:  global
        .offset:         32
        .size:           8
        .value_kind:     global_buffer
      - .offset:         40
        .size:           48
        .value_kind:     by_value
      - .offset:         88
        .size:           48
        .value_kind:     by_value
      - .offset:         136
        .size:           48
        .value_kind:     by_value
      - .offset:         184
        .size:           4
        .value_kind:     by_value
      - .offset:         188
        .size:           4
        .value_kind:     by_value
      - .offset:         192
        .size:           4
        .value_kind:     by_value
      - .offset:         196
        .size:           4
        .value_kind:     by_value
      - .offset:         200
        .size:           4
        .value_kind:     by_value
      - .offset:         204
        .size:           4
        .value_kind:     by_value
      - .offset:         208
        .size:           4
        .value_kind:     by_value
      - .offset:         212
        .size:           4
        .value_kind:     by_value
      - .offset:         216
        .size:           4
        .value_kind:     by_value
      - .offset:         220
        .size:           4
        .value_kind:     by_value
      - .offset:         224
        .size:           4
        .value_kind:     by_value
      - .offset:         228
        .size:           4
        .value_kind:     by_value
      - .offset:         232
        .size:           4
        .value_kind:     by_value
      - .offset:         236
        .size:           4
        .value_kind:     by_value
      - .offset:         240
        .size:           4
        .value_kind:     by_value
      - .offset:         244
        .size:           4
        .value_kind:     by_value
      - .offset:         248
        .size:           4
        .value_kind:     by_value
      - .offset:         252
        .size:           4
        .value_kind:     by_value
      - .offset:         256
        .size:           4
        .value_kind:     by_value
      - .offset:         260
        .size:           4
        .value_kind:     by_value
      - .offset:         264
        .size:           4
        .value_kind:     by_value
      - .offset:         268
        .size:           4
        .value_kind:     by_value
      - .offset:         272
        .size:           4
        .value_kind:     hidden_block_count_x
      - .offset:         276
        .size:           4
        .value_kind:     hidden_block_count_y
      - .offset:         280
        .size:           4
        .value_kind:     hidden_block_count_z
      - .offset:         284
        .size:           2
        .value_kind:     hidden_group_size_x
      - .offset:         286
        .size:           2
        .value_kind:     hidden_group_size_y
      - .offset:         288
        .size:           2
        .value_kind:     hidden_group_size_z
      - .offset:         290
        .size:           2
        .value_kind:     hidden_remainder_x
      - .offset:         292
        .size:           2
        .value_kind:     hidden_remainder_y
      - .offset:         294
        .size:           2
        .value_kind:     hidden_remainder_z
      - .offset:         312
        .size:           8
        .value_kind:     hidden_global_offset_x
      - .offset:         320
        .size:           8
        .value_kind:     hidden_global_offset_y
      - .offset:         328
        .size:           8
        .value_kind:     hidden_global_offset_z
      - .offset:         336
        .size:           2
        .value_kind:     hidden_grid_dims
    .group_segment_fixed_size: 0
    .kernarg_segment_align: 8
    .kernarg_segment_size: 528
    .language:       OpenCL C
    .language_version:
      - 2
      - 0
    .max_flat_workgroup_size: 1024
    .name:           naive_conv_ab_packed_fwd_ndhwc_half_double_half
    .private_segment_fixed_size: 0
    .sgpr_count:     88
    .sgpr_spill_count: 0
    .symbol:         naive_conv_ab_packed_fwd_ndhwc_half_double_half.kd
    .uniform_work_group_size: 1
    .uses_dynamic_stack: false
    .vgpr_count:     32
    .vgpr_spill_count: 0
    .wavefront_size: 64
  - .args:
      - .actual_access:  read_only
        .address_space:  global
        .offset:         0
        .size:           8
        .value_kind:     global_buffer
      - .actual_access:  read_only
        .address_space:  global
        .offset:         8
        .size:           8
        .value_kind:     global_buffer
      - .offset:         16
        .size:           8
        .value_kind:     by_value
      - .offset:         24
        .size:           8
        .value_kind:     by_value
      - .address_space:  global
        .offset:         32
        .size:           8
        .value_kind:     global_buffer
      - .offset:         40
        .size:           48
        .value_kind:     by_value
      - .offset:         88
        .size:           48
        .value_kind:     by_value
      - .offset:         136
        .size:           48
        .value_kind:     by_value
      - .offset:         184
        .size:           4
        .value_kind:     by_value
      - .offset:         188
        .size:           4
        .value_kind:     by_value
      - .offset:         192
        .size:           4
        .value_kind:     by_value
      - .offset:         196
        .size:           4
        .value_kind:     by_value
      - .offset:         200
        .size:           4
        .value_kind:     by_value
      - .offset:         204
        .size:           4
        .value_kind:     by_value
      - .offset:         208
        .size:           4
        .value_kind:     by_value
      - .offset:         212
        .size:           4
        .value_kind:     by_value
      - .offset:         216
        .size:           4
        .value_kind:     by_value
      - .offset:         220
        .size:           4
        .value_kind:     by_value
      - .offset:         224
        .size:           4
        .value_kind:     by_value
      - .offset:         228
        .size:           4
        .value_kind:     by_value
      - .offset:         232
        .size:           4
        .value_kind:     by_value
      - .offset:         236
        .size:           4
        .value_kind:     by_value
      - .offset:         240
        .size:           4
        .value_kind:     by_value
      - .offset:         244
        .size:           4
        .value_kind:     by_value
      - .offset:         248
        .size:           4
        .value_kind:     by_value
      - .offset:         252
        .size:           4
        .value_kind:     by_value
      - .offset:         256
        .size:           4
        .value_kind:     by_value
      - .offset:         260
        .size:           4
        .value_kind:     by_value
      - .offset:         264
        .size:           4
        .value_kind:     by_value
      - .offset:         268
        .size:           4
        .value_kind:     by_value
      - .offset:         272
        .size:           4
        .value_kind:     hidden_block_count_x
      - .offset:         276
        .size:           4
        .value_kind:     hidden_block_count_y
      - .offset:         280
        .size:           4
        .value_kind:     hidden_block_count_z
      - .offset:         284
        .size:           2
        .value_kind:     hidden_group_size_x
      - .offset:         286
        .size:           2
        .value_kind:     hidden_group_size_y
      - .offset:         288
        .size:           2
        .value_kind:     hidden_group_size_z
      - .offset:         290
        .size:           2
        .value_kind:     hidden_remainder_x
      - .offset:         292
        .size:           2
        .value_kind:     hidden_remainder_y
      - .offset:         294
        .size:           2
        .value_kind:     hidden_remainder_z
      - .offset:         312
        .size:           8
        .value_kind:     hidden_global_offset_x
      - .offset:         320
        .size:           8
        .value_kind:     hidden_global_offset_y
      - .offset:         328
        .size:           8
        .value_kind:     hidden_global_offset_z
      - .offset:         336
        .size:           2
        .value_kind:     hidden_grid_dims
    .group_segment_fixed_size: 0
    .kernarg_segment_align: 8
    .kernarg_segment_size: 528
    .language:       OpenCL C
    .language_version:
      - 2
      - 0
    .max_flat_workgroup_size: 1024
    .name:           naive_conv_ab_nonpacked_fwd_ndhwc_half_double_half
    .private_segment_fixed_size: 0
    .sgpr_count:     93
    .sgpr_spill_count: 0
    .symbol:         naive_conv_ab_nonpacked_fwd_ndhwc_half_double_half.kd
    .uniform_work_group_size: 1
    .uses_dynamic_stack: false
    .vgpr_count:     32
    .vgpr_spill_count: 0
    .wavefront_size: 64
  - .args:
      - .actual_access:  read_only
        .address_space:  global
        .offset:         0
        .size:           8
        .value_kind:     global_buffer
      - .actual_access:  read_only
        .address_space:  global
        .offset:         8
        .size:           8
        .value_kind:     global_buffer
      - .offset:         16
        .size:           8
        .value_kind:     by_value
      - .offset:         24
        .size:           8
        .value_kind:     by_value
      - .address_space:  global
        .offset:         32
        .size:           8
        .value_kind:     global_buffer
      - .offset:         40
        .size:           48
        .value_kind:     by_value
      - .offset:         88
        .size:           48
        .value_kind:     by_value
      - .offset:         136
        .size:           48
        .value_kind:     by_value
      - .offset:         184
        .size:           4
        .value_kind:     by_value
      - .offset:         188
        .size:           4
        .value_kind:     by_value
      - .offset:         192
        .size:           4
        .value_kind:     by_value
      - .offset:         196
        .size:           4
        .value_kind:     by_value
      - .offset:         200
        .size:           4
        .value_kind:     by_value
      - .offset:         204
        .size:           4
        .value_kind:     by_value
      - .offset:         208
        .size:           4
        .value_kind:     by_value
      - .offset:         212
        .size:           4
        .value_kind:     by_value
      - .offset:         216
        .size:           4
        .value_kind:     by_value
      - .offset:         220
        .size:           4
        .value_kind:     by_value
      - .offset:         224
        .size:           4
        .value_kind:     by_value
      - .offset:         228
        .size:           4
        .value_kind:     by_value
      - .offset:         232
        .size:           4
        .value_kind:     by_value
      - .offset:         236
        .size:           4
        .value_kind:     by_value
      - .offset:         240
        .size:           4
        .value_kind:     by_value
      - .offset:         244
        .size:           4
        .value_kind:     by_value
      - .offset:         248
        .size:           4
        .value_kind:     by_value
      - .offset:         252
        .size:           4
        .value_kind:     by_value
      - .offset:         256
        .size:           4
        .value_kind:     by_value
      - .offset:         260
        .size:           4
        .value_kind:     by_value
      - .offset:         264
        .size:           4
        .value_kind:     by_value
      - .offset:         268
        .size:           4
        .value_kind:     by_value
      - .offset:         272
        .size:           4
        .value_kind:     hidden_block_count_x
      - .offset:         276
        .size:           4
        .value_kind:     hidden_block_count_y
      - .offset:         280
        .size:           4
        .value_kind:     hidden_block_count_z
      - .offset:         284
        .size:           2
        .value_kind:     hidden_group_size_x
      - .offset:         286
        .size:           2
        .value_kind:     hidden_group_size_y
      - .offset:         288
        .size:           2
        .value_kind:     hidden_group_size_z
      - .offset:         290
        .size:           2
        .value_kind:     hidden_remainder_x
      - .offset:         292
        .size:           2
        .value_kind:     hidden_remainder_y
      - .offset:         294
        .size:           2
        .value_kind:     hidden_remainder_z
      - .offset:         312
        .size:           8
        .value_kind:     hidden_global_offset_x
      - .offset:         320
        .size:           8
        .value_kind:     hidden_global_offset_y
      - .offset:         328
        .size:           8
        .value_kind:     hidden_global_offset_z
      - .offset:         336
        .size:           2
        .value_kind:     hidden_grid_dims
    .group_segment_fixed_size: 0
    .kernarg_segment_align: 8
    .kernarg_segment_size: 528
    .language:       OpenCL C
    .language_version:
      - 2
      - 0
    .max_flat_workgroup_size: 1024
    .name:           naive_conv_ab_packed_fwd_ndhwc_ushort_double_ushort
    .private_segment_fixed_size: 0
    .sgpr_count:     85
    .sgpr_spill_count: 0
    .symbol:         naive_conv_ab_packed_fwd_ndhwc_ushort_double_ushort.kd
    .uniform_work_group_size: 1
    .uses_dynamic_stack: false
    .vgpr_count:     31
    .vgpr_spill_count: 0
    .wavefront_size: 64
  - .args:
      - .actual_access:  read_only
        .address_space:  global
        .offset:         0
        .size:           8
        .value_kind:     global_buffer
      - .actual_access:  read_only
        .address_space:  global
        .offset:         8
        .size:           8
        .value_kind:     global_buffer
      - .offset:         16
        .size:           8
        .value_kind:     by_value
      - .offset:         24
        .size:           8
        .value_kind:     by_value
      - .address_space:  global
        .offset:         32
        .size:           8
        .value_kind:     global_buffer
      - .offset:         40
        .size:           48
        .value_kind:     by_value
      - .offset:         88
        .size:           48
        .value_kind:     by_value
      - .offset:         136
        .size:           48
        .value_kind:     by_value
      - .offset:         184
        .size:           4
        .value_kind:     by_value
      - .offset:         188
        .size:           4
        .value_kind:     by_value
      - .offset:         192
        .size:           4
        .value_kind:     by_value
      - .offset:         196
        .size:           4
        .value_kind:     by_value
      - .offset:         200
        .size:           4
        .value_kind:     by_value
      - .offset:         204
        .size:           4
        .value_kind:     by_value
      - .offset:         208
        .size:           4
        .value_kind:     by_value
      - .offset:         212
        .size:           4
        .value_kind:     by_value
      - .offset:         216
        .size:           4
        .value_kind:     by_value
      - .offset:         220
        .size:           4
        .value_kind:     by_value
      - .offset:         224
        .size:           4
        .value_kind:     by_value
      - .offset:         228
        .size:           4
        .value_kind:     by_value
      - .offset:         232
        .size:           4
        .value_kind:     by_value
      - .offset:         236
        .size:           4
        .value_kind:     by_value
      - .offset:         240
        .size:           4
        .value_kind:     by_value
      - .offset:         244
        .size:           4
        .value_kind:     by_value
      - .offset:         248
        .size:           4
        .value_kind:     by_value
      - .offset:         252
        .size:           4
        .value_kind:     by_value
      - .offset:         256
        .size:           4
        .value_kind:     by_value
      - .offset:         260
        .size:           4
        .value_kind:     by_value
      - .offset:         264
        .size:           4
        .value_kind:     by_value
      - .offset:         268
        .size:           4
        .value_kind:     by_value
      - .offset:         272
        .size:           4
        .value_kind:     hidden_block_count_x
      - .offset:         276
        .size:           4
        .value_kind:     hidden_block_count_y
      - .offset:         280
        .size:           4
        .value_kind:     hidden_block_count_z
      - .offset:         284
        .size:           2
        .value_kind:     hidden_group_size_x
      - .offset:         286
        .size:           2
        .value_kind:     hidden_group_size_y
      - .offset:         288
        .size:           2
        .value_kind:     hidden_group_size_z
      - .offset:         290
        .size:           2
        .value_kind:     hidden_remainder_x
      - .offset:         292
        .size:           2
        .value_kind:     hidden_remainder_y
      - .offset:         294
        .size:           2
        .value_kind:     hidden_remainder_z
      - .offset:         312
        .size:           8
        .value_kind:     hidden_global_offset_x
      - .offset:         320
        .size:           8
        .value_kind:     hidden_global_offset_y
      - .offset:         328
        .size:           8
        .value_kind:     hidden_global_offset_z
      - .offset:         336
        .size:           2
        .value_kind:     hidden_grid_dims
    .group_segment_fixed_size: 0
    .kernarg_segment_align: 8
    .kernarg_segment_size: 528
    .language:       OpenCL C
    .language_version:
      - 2
      - 0
    .max_flat_workgroup_size: 1024
    .name:           naive_conv_ab_nonpacked_fwd_ndhwc_ushort_double_ushort
    .private_segment_fixed_size: 0
    .sgpr_count:     90
    .sgpr_spill_count: 0
    .symbol:         naive_conv_ab_nonpacked_fwd_ndhwc_ushort_double_ushort.kd
    .uniform_work_group_size: 1
    .uses_dynamic_stack: false
    .vgpr_count:     31
    .vgpr_spill_count: 0
    .wavefront_size: 64
  - .args:
      - .actual_access:  read_only
        .address_space:  global
        .offset:         0
        .size:           8
        .value_kind:     global_buffer
      - .actual_access:  read_only
        .address_space:  global
        .offset:         8
        .size:           8
        .value_kind:     global_buffer
      - .offset:         16
        .size:           8
        .value_kind:     by_value
      - .offset:         24
        .size:           8
        .value_kind:     by_value
      - .address_space:  global
        .offset:         32
        .size:           8
        .value_kind:     global_buffer
      - .offset:         40
        .size:           48
        .value_kind:     by_value
      - .offset:         88
        .size:           48
        .value_kind:     by_value
      - .offset:         136
        .size:           48
        .value_kind:     by_value
      - .offset:         184
        .size:           4
        .value_kind:     by_value
      - .offset:         188
        .size:           4
        .value_kind:     by_value
      - .offset:         192
        .size:           4
        .value_kind:     by_value
      - .offset:         196
        .size:           4
        .value_kind:     by_value
      - .offset:         200
        .size:           4
        .value_kind:     by_value
      - .offset:         204
        .size:           4
        .value_kind:     by_value
      - .offset:         208
        .size:           4
        .value_kind:     by_value
      - .offset:         212
        .size:           4
        .value_kind:     by_value
      - .offset:         216
        .size:           4
        .value_kind:     by_value
      - .offset:         220
        .size:           4
        .value_kind:     by_value
      - .offset:         224
        .size:           4
        .value_kind:     by_value
      - .offset:         228
        .size:           4
        .value_kind:     by_value
      - .offset:         232
        .size:           4
        .value_kind:     by_value
      - .offset:         236
        .size:           4
        .value_kind:     by_value
      - .offset:         240
        .size:           4
        .value_kind:     by_value
      - .offset:         244
        .size:           4
        .value_kind:     by_value
      - .offset:         248
        .size:           4
        .value_kind:     by_value
      - .offset:         252
        .size:           4
        .value_kind:     by_value
      - .offset:         256
        .size:           4
        .value_kind:     by_value
      - .offset:         260
        .size:           4
        .value_kind:     by_value
      - .offset:         264
        .size:           4
        .value_kind:     by_value
      - .offset:         268
        .size:           4
        .value_kind:     by_value
      - .offset:         272
        .size:           4
        .value_kind:     hidden_block_count_x
      - .offset:         276
        .size:           4
        .value_kind:     hidden_block_count_y
      - .offset:         280
        .size:           4
        .value_kind:     hidden_block_count_z
      - .offset:         284
        .size:           2
        .value_kind:     hidden_group_size_x
      - .offset:         286
        .size:           2
        .value_kind:     hidden_group_size_y
      - .offset:         288
        .size:           2
        .value_kind:     hidden_group_size_z
      - .offset:         290
        .size:           2
        .value_kind:     hidden_remainder_x
      - .offset:         292
        .size:           2
        .value_kind:     hidden_remainder_y
      - .offset:         294
        .size:           2
        .value_kind:     hidden_remainder_z
      - .offset:         312
        .size:           8
        .value_kind:     hidden_global_offset_x
      - .offset:         320
        .size:           8
        .value_kind:     hidden_global_offset_y
      - .offset:         328
        .size:           8
        .value_kind:     hidden_global_offset_z
      - .offset:         336
        .size:           2
        .value_kind:     hidden_grid_dims
    .group_segment_fixed_size: 0
    .kernarg_segment_align: 8
    .kernarg_segment_size: 528
    .language:       OpenCL C
    .language_version:
      - 2
      - 0
    .max_flat_workgroup_size: 1024
    .name:           naive_conv_ab_packed_fwd_ndhwc_int8_t_int32_t_int32_t
    .private_segment_fixed_size: 0
    .sgpr_count:     80
    .sgpr_spill_count: 0
    .symbol:         naive_conv_ab_packed_fwd_ndhwc_int8_t_int32_t_int32_t.kd
    .uniform_work_group_size: 1
    .uses_dynamic_stack: false
    .vgpr_count:     29
    .vgpr_spill_count: 0
    .wavefront_size: 64
  - .args:
      - .actual_access:  read_only
        .address_space:  global
        .offset:         0
        .size:           8
        .value_kind:     global_buffer
      - .actual_access:  read_only
        .address_space:  global
        .offset:         8
        .size:           8
        .value_kind:     global_buffer
      - .offset:         16
        .size:           8
        .value_kind:     by_value
      - .offset:         24
        .size:           8
        .value_kind:     by_value
      - .address_space:  global
        .offset:         32
        .size:           8
        .value_kind:     global_buffer
      - .offset:         40
        .size:           48
        .value_kind:     by_value
      - .offset:         88
        .size:           48
        .value_kind:     by_value
      - .offset:         136
        .size:           48
        .value_kind:     by_value
      - .offset:         184
        .size:           4
        .value_kind:     by_value
      - .offset:         188
        .size:           4
        .value_kind:     by_value
      - .offset:         192
        .size:           4
        .value_kind:     by_value
      - .offset:         196
        .size:           4
        .value_kind:     by_value
      - .offset:         200
        .size:           4
        .value_kind:     by_value
      - .offset:         204
        .size:           4
        .value_kind:     by_value
      - .offset:         208
        .size:           4
        .value_kind:     by_value
      - .offset:         212
        .size:           4
        .value_kind:     by_value
      - .offset:         216
        .size:           4
        .value_kind:     by_value
      - .offset:         220
        .size:           4
        .value_kind:     by_value
      - .offset:         224
        .size:           4
        .value_kind:     by_value
      - .offset:         228
        .size:           4
        .value_kind:     by_value
      - .offset:         232
        .size:           4
        .value_kind:     by_value
      - .offset:         236
        .size:           4
        .value_kind:     by_value
      - .offset:         240
        .size:           4
        .value_kind:     by_value
      - .offset:         244
        .size:           4
        .value_kind:     by_value
      - .offset:         248
        .size:           4
        .value_kind:     by_value
      - .offset:         252
        .size:           4
        .value_kind:     by_value
      - .offset:         256
        .size:           4
        .value_kind:     by_value
      - .offset:         260
        .size:           4
        .value_kind:     by_value
      - .offset:         264
        .size:           4
        .value_kind:     by_value
      - .offset:         268
        .size:           4
        .value_kind:     by_value
      - .offset:         272
        .size:           4
        .value_kind:     hidden_block_count_x
      - .offset:         276
        .size:           4
        .value_kind:     hidden_block_count_y
      - .offset:         280
        .size:           4
        .value_kind:     hidden_block_count_z
      - .offset:         284
        .size:           2
        .value_kind:     hidden_group_size_x
      - .offset:         286
        .size:           2
        .value_kind:     hidden_group_size_y
      - .offset:         288
        .size:           2
        .value_kind:     hidden_group_size_z
      - .offset:         290
        .size:           2
        .value_kind:     hidden_remainder_x
      - .offset:         292
        .size:           2
        .value_kind:     hidden_remainder_y
      - .offset:         294
        .size:           2
        .value_kind:     hidden_remainder_z
      - .offset:         312
        .size:           8
        .value_kind:     hidden_global_offset_x
      - .offset:         320
        .size:           8
        .value_kind:     hidden_global_offset_y
      - .offset:         328
        .size:           8
        .value_kind:     hidden_global_offset_z
      - .offset:         336
        .size:           2
        .value_kind:     hidden_grid_dims
    .group_segment_fixed_size: 0
    .kernarg_segment_align: 8
    .kernarg_segment_size: 528
    .language:       OpenCL C
    .language_version:
      - 2
      - 0
    .max_flat_workgroup_size: 1024
    .name:           naive_conv_ab_nonpacked_fwd_ndhwc_int8_t_int32_t_int32_t
    .private_segment_fixed_size: 0
    .sgpr_count:     87
    .sgpr_spill_count: 0
    .symbol:         naive_conv_ab_nonpacked_fwd_ndhwc_int8_t_int32_t_int32_t.kd
    .uniform_work_group_size: 1
    .uses_dynamic_stack: false
    .vgpr_count:     29
    .vgpr_spill_count: 0
    .wavefront_size: 64
  - .args:
      - .actual_access:  read_only
        .address_space:  global
        .offset:         0
        .size:           8
        .value_kind:     global_buffer
      - .actual_access:  read_only
        .address_space:  global
        .offset:         8
        .size:           8
        .value_kind:     global_buffer
      - .offset:         16
        .size:           8
        .value_kind:     by_value
      - .offset:         24
        .size:           8
        .value_kind:     by_value
      - .address_space:  global
        .offset:         32
        .size:           8
        .value_kind:     global_buffer
      - .offset:         40
        .size:           48
        .value_kind:     by_value
      - .offset:         88
        .size:           48
        .value_kind:     by_value
      - .offset:         136
        .size:           48
        .value_kind:     by_value
      - .offset:         184
        .size:           4
        .value_kind:     by_value
      - .offset:         188
        .size:           4
        .value_kind:     by_value
      - .offset:         192
        .size:           4
        .value_kind:     by_value
      - .offset:         196
        .size:           4
        .value_kind:     by_value
      - .offset:         200
        .size:           4
        .value_kind:     by_value
      - .offset:         204
        .size:           4
        .value_kind:     by_value
      - .offset:         208
        .size:           4
        .value_kind:     by_value
      - .offset:         212
        .size:           4
        .value_kind:     by_value
      - .offset:         216
        .size:           4
        .value_kind:     by_value
      - .offset:         220
        .size:           4
        .value_kind:     by_value
      - .offset:         224
        .size:           4
        .value_kind:     by_value
      - .offset:         228
        .size:           4
        .value_kind:     by_value
      - .offset:         232
        .size:           4
        .value_kind:     by_value
      - .offset:         236
        .size:           4
        .value_kind:     by_value
      - .offset:         240
        .size:           4
        .value_kind:     by_value
      - .offset:         244
        .size:           4
        .value_kind:     by_value
      - .offset:         248
        .size:           4
        .value_kind:     by_value
      - .offset:         252
        .size:           4
        .value_kind:     by_value
      - .offset:         256
        .size:           4
        .value_kind:     by_value
      - .offset:         260
        .size:           4
        .value_kind:     by_value
      - .offset:         264
        .size:           4
        .value_kind:     by_value
      - .offset:         268
        .size:           4
        .value_kind:     by_value
      - .offset:         272
        .size:           4
        .value_kind:     hidden_block_count_x
      - .offset:         276
        .size:           4
        .value_kind:     hidden_block_count_y
      - .offset:         280
        .size:           4
        .value_kind:     hidden_block_count_z
      - .offset:         284
        .size:           2
        .value_kind:     hidden_group_size_x
      - .offset:         286
        .size:           2
        .value_kind:     hidden_group_size_y
      - .offset:         288
        .size:           2
        .value_kind:     hidden_group_size_z
      - .offset:         290
        .size:           2
        .value_kind:     hidden_remainder_x
      - .offset:         292
        .size:           2
        .value_kind:     hidden_remainder_y
      - .offset:         294
        .size:           2
        .value_kind:     hidden_remainder_z
      - .offset:         312
        .size:           8
        .value_kind:     hidden_global_offset_x
      - .offset:         320
        .size:           8
        .value_kind:     hidden_global_offset_y
      - .offset:         328
        .size:           8
        .value_kind:     hidden_global_offset_z
      - .offset:         336
        .size:           2
        .value_kind:     hidden_grid_dims
    .group_segment_fixed_size: 0
    .kernarg_segment_align: 8
    .kernarg_segment_size: 528
    .language:       OpenCL C
    .language_version:
      - 2
      - 0
    .max_flat_workgroup_size: 1024
    .name:           naive_conv_ab_packed_fwd_ndhwc_int8_t_int32_t_float
    .private_segment_fixed_size: 0
    .sgpr_count:     80
    .sgpr_spill_count: 0
    .symbol:         naive_conv_ab_packed_fwd_ndhwc_int8_t_int32_t_float.kd
    .uniform_work_group_size: 1
    .uses_dynamic_stack: false
    .vgpr_count:     29
    .vgpr_spill_count: 0
    .wavefront_size: 64
  - .args:
      - .actual_access:  read_only
        .address_space:  global
        .offset:         0
        .size:           8
        .value_kind:     global_buffer
      - .actual_access:  read_only
        .address_space:  global
        .offset:         8
        .size:           8
        .value_kind:     global_buffer
      - .offset:         16
        .size:           8
        .value_kind:     by_value
      - .offset:         24
        .size:           8
        .value_kind:     by_value
      - .address_space:  global
        .offset:         32
        .size:           8
        .value_kind:     global_buffer
      - .offset:         40
        .size:           48
        .value_kind:     by_value
      - .offset:         88
        .size:           48
        .value_kind:     by_value
      - .offset:         136
        .size:           48
        .value_kind:     by_value
      - .offset:         184
        .size:           4
        .value_kind:     by_value
      - .offset:         188
        .size:           4
        .value_kind:     by_value
      - .offset:         192
        .size:           4
        .value_kind:     by_value
      - .offset:         196
        .size:           4
        .value_kind:     by_value
      - .offset:         200
        .size:           4
        .value_kind:     by_value
      - .offset:         204
        .size:           4
        .value_kind:     by_value
      - .offset:         208
        .size:           4
        .value_kind:     by_value
      - .offset:         212
        .size:           4
        .value_kind:     by_value
      - .offset:         216
        .size:           4
        .value_kind:     by_value
      - .offset:         220
        .size:           4
        .value_kind:     by_value
      - .offset:         224
        .size:           4
        .value_kind:     by_value
      - .offset:         228
        .size:           4
        .value_kind:     by_value
      - .offset:         232
        .size:           4
        .value_kind:     by_value
      - .offset:         236
        .size:           4
        .value_kind:     by_value
      - .offset:         240
        .size:           4
        .value_kind:     by_value
      - .offset:         244
        .size:           4
        .value_kind:     by_value
      - .offset:         248
        .size:           4
        .value_kind:     by_value
      - .offset:         252
        .size:           4
        .value_kind:     by_value
      - .offset:         256
        .size:           4
        .value_kind:     by_value
      - .offset:         260
        .size:           4
        .value_kind:     by_value
      - .offset:         264
        .size:           4
        .value_kind:     by_value
      - .offset:         268
        .size:           4
        .value_kind:     by_value
      - .offset:         272
        .size:           4
        .value_kind:     hidden_block_count_x
      - .offset:         276
        .size:           4
        .value_kind:     hidden_block_count_y
      - .offset:         280
        .size:           4
        .value_kind:     hidden_block_count_z
      - .offset:         284
        .size:           2
        .value_kind:     hidden_group_size_x
      - .offset:         286
        .size:           2
        .value_kind:     hidden_group_size_y
      - .offset:         288
        .size:           2
        .value_kind:     hidden_group_size_z
      - .offset:         290
        .size:           2
        .value_kind:     hidden_remainder_x
      - .offset:         292
        .size:           2
        .value_kind:     hidden_remainder_y
      - .offset:         294
        .size:           2
        .value_kind:     hidden_remainder_z
      - .offset:         312
        .size:           8
        .value_kind:     hidden_global_offset_x
      - .offset:         320
        .size:           8
        .value_kind:     hidden_global_offset_y
      - .offset:         328
        .size:           8
        .value_kind:     hidden_global_offset_z
      - .offset:         336
        .size:           2
        .value_kind:     hidden_grid_dims
    .group_segment_fixed_size: 0
    .kernarg_segment_align: 8
    .kernarg_segment_size: 528
    .language:       OpenCL C
    .language_version:
      - 2
      - 0
    .max_flat_workgroup_size: 1024
    .name:           naive_conv_ab_nonpacked_fwd_ndhwc_int8_t_int32_t_float
    .private_segment_fixed_size: 0
    .sgpr_count:     87
    .sgpr_spill_count: 0
    .symbol:         naive_conv_ab_nonpacked_fwd_ndhwc_int8_t_int32_t_float.kd
    .uniform_work_group_size: 1
    .uses_dynamic_stack: false
    .vgpr_count:     29
    .vgpr_spill_count: 0
    .wavefront_size: 64
  - .args:
      - .address_space:  global
        .offset:         0
        .size:           8
        .value_kind:     global_buffer
      - .actual_access:  read_only
        .address_space:  global
        .offset:         8
        .size:           8
        .value_kind:     global_buffer
      - .offset:         16
        .size:           8
        .value_kind:     by_value
      - .offset:         24
        .size:           8
        .value_kind:     by_value
      - .actual_access:  read_only
        .address_space:  global
        .offset:         32
        .size:           8
        .value_kind:     global_buffer
      - .offset:         40
        .size:           48
        .value_kind:     by_value
      - .offset:         88
        .size:           48
        .value_kind:     by_value
      - .offset:         136
        .size:           48
        .value_kind:     by_value
      - .offset:         184
        .size:           4
        .value_kind:     by_value
      - .offset:         188
        .size:           4
        .value_kind:     by_value
      - .offset:         192
        .size:           4
        .value_kind:     by_value
      - .offset:         196
        .size:           4
        .value_kind:     by_value
      - .offset:         200
        .size:           4
        .value_kind:     by_value
      - .offset:         204
        .size:           4
        .value_kind:     by_value
      - .offset:         208
        .size:           4
        .value_kind:     by_value
      - .offset:         212
        .size:           4
        .value_kind:     by_value
      - .offset:         216
        .size:           4
        .value_kind:     by_value
      - .offset:         220
        .size:           4
        .value_kind:     by_value
      - .offset:         224
        .size:           4
        .value_kind:     by_value
      - .offset:         228
        .size:           4
        .value_kind:     by_value
      - .offset:         232
        .size:           4
        .value_kind:     by_value
      - .offset:         236
        .size:           4
        .value_kind:     by_value
      - .offset:         240
        .size:           4
        .value_kind:     by_value
      - .offset:         244
        .size:           4
        .value_kind:     by_value
      - .offset:         248
        .size:           4
        .value_kind:     by_value
      - .offset:         252
        .size:           4
        .value_kind:     by_value
      - .offset:         256
        .size:           4
        .value_kind:     by_value
      - .offset:         260
        .size:           4
        .value_kind:     by_value
      - .offset:         264
        .size:           4
        .value_kind:     by_value
      - .offset:         268
        .size:           4
        .value_kind:     by_value
      - .offset:         272
        .size:           4
        .value_kind:     hidden_block_count_x
      - .offset:         276
        .size:           4
        .value_kind:     hidden_block_count_y
      - .offset:         280
        .size:           4
        .value_kind:     hidden_block_count_z
      - .offset:         284
        .size:           2
        .value_kind:     hidden_group_size_x
      - .offset:         286
        .size:           2
        .value_kind:     hidden_group_size_y
      - .offset:         288
        .size:           2
        .value_kind:     hidden_group_size_z
      - .offset:         290
        .size:           2
        .value_kind:     hidden_remainder_x
      - .offset:         292
        .size:           2
        .value_kind:     hidden_remainder_y
      - .offset:         294
        .size:           2
        .value_kind:     hidden_remainder_z
      - .offset:         312
        .size:           8
        .value_kind:     hidden_global_offset_x
      - .offset:         320
        .size:           8
        .value_kind:     hidden_global_offset_y
      - .offset:         328
        .size:           8
        .value_kind:     hidden_global_offset_z
      - .offset:         336
        .size:           2
        .value_kind:     hidden_grid_dims
    .group_segment_fixed_size: 0
    .kernarg_segment_align: 8
    .kernarg_segment_size: 528
    .language:       OpenCL C
    .language_version:
      - 2
      - 0
    .max_flat_workgroup_size: 1024
    .name:           naive_conv_ab_packed_bwd_ncdhw_float_double_float
    .private_segment_fixed_size: 0
    .sgpr_count:     82
    .sgpr_spill_count: 0
    .symbol:         naive_conv_ab_packed_bwd_ncdhw_float_double_float.kd
    .uniform_work_group_size: 1
    .uses_dynamic_stack: false
    .vgpr_count:     28
    .vgpr_spill_count: 0
    .wavefront_size: 64
  - .args:
      - .address_space:  global
        .offset:         0
        .size:           8
        .value_kind:     global_buffer
      - .actual_access:  read_only
        .address_space:  global
        .offset:         8
        .size:           8
        .value_kind:     global_buffer
      - .offset:         16
        .size:           8
        .value_kind:     by_value
      - .offset:         24
        .size:           8
        .value_kind:     by_value
      - .actual_access:  read_only
        .address_space:  global
        .offset:         32
        .size:           8
        .value_kind:     global_buffer
      - .offset:         40
        .size:           48
        .value_kind:     by_value
      - .offset:         88
        .size:           48
        .value_kind:     by_value
      - .offset:         136
        .size:           48
        .value_kind:     by_value
      - .offset:         184
        .size:           4
        .value_kind:     by_value
      - .offset:         188
        .size:           4
        .value_kind:     by_value
      - .offset:         192
        .size:           4
        .value_kind:     by_value
      - .offset:         196
        .size:           4
        .value_kind:     by_value
      - .offset:         200
        .size:           4
        .value_kind:     by_value
      - .offset:         204
        .size:           4
        .value_kind:     by_value
      - .offset:         208
        .size:           4
        .value_kind:     by_value
      - .offset:         212
        .size:           4
        .value_kind:     by_value
      - .offset:         216
        .size:           4
        .value_kind:     by_value
      - .offset:         220
        .size:           4
        .value_kind:     by_value
      - .offset:         224
        .size:           4
        .value_kind:     by_value
      - .offset:         228
        .size:           4
        .value_kind:     by_value
      - .offset:         232
        .size:           4
        .value_kind:     by_value
      - .offset:         236
        .size:           4
        .value_kind:     by_value
      - .offset:         240
        .size:           4
        .value_kind:     by_value
      - .offset:         244
        .size:           4
        .value_kind:     by_value
      - .offset:         248
        .size:           4
        .value_kind:     by_value
      - .offset:         252
        .size:           4
        .value_kind:     by_value
      - .offset:         256
        .size:           4
        .value_kind:     by_value
      - .offset:         260
        .size:           4
        .value_kind:     by_value
      - .offset:         264
        .size:           4
        .value_kind:     by_value
      - .offset:         268
        .size:           4
        .value_kind:     by_value
      - .offset:         272
        .size:           4
        .value_kind:     hidden_block_count_x
      - .offset:         276
        .size:           4
        .value_kind:     hidden_block_count_y
      - .offset:         280
        .size:           4
        .value_kind:     hidden_block_count_z
      - .offset:         284
        .size:           2
        .value_kind:     hidden_group_size_x
      - .offset:         286
        .size:           2
        .value_kind:     hidden_group_size_y
      - .offset:         288
        .size:           2
        .value_kind:     hidden_group_size_z
      - .offset:         290
        .size:           2
        .value_kind:     hidden_remainder_x
      - .offset:         292
        .size:           2
        .value_kind:     hidden_remainder_y
      - .offset:         294
        .size:           2
        .value_kind:     hidden_remainder_z
      - .offset:         312
        .size:           8
        .value_kind:     hidden_global_offset_x
      - .offset:         320
        .size:           8
        .value_kind:     hidden_global_offset_y
      - .offset:         328
        .size:           8
        .value_kind:     hidden_global_offset_z
      - .offset:         336
        .size:           2
        .value_kind:     hidden_grid_dims
    .group_segment_fixed_size: 0
    .kernarg_segment_align: 8
    .kernarg_segment_size: 528
    .language:       OpenCL C
    .language_version:
      - 2
      - 0
    .max_flat_workgroup_size: 1024
    .name:           naive_conv_ab_nonpacked_bwd_ncdhw_float_double_float
    .private_segment_fixed_size: 0
    .sgpr_count:     94
    .sgpr_spill_count: 0
    .symbol:         naive_conv_ab_nonpacked_bwd_ncdhw_float_double_float.kd
    .uniform_work_group_size: 1
    .uses_dynamic_stack: false
    .vgpr_count:     28
    .vgpr_spill_count: 0
    .wavefront_size: 64
  - .args:
      - .address_space:  global
        .offset:         0
        .size:           8
        .value_kind:     global_buffer
      - .actual_access:  read_only
        .address_space:  global
        .offset:         8
        .size:           8
        .value_kind:     global_buffer
      - .offset:         16
        .size:           8
        .value_kind:     by_value
      - .offset:         24
        .size:           8
        .value_kind:     by_value
      - .actual_access:  read_only
        .address_space:  global
        .offset:         32
        .size:           8
        .value_kind:     global_buffer
      - .offset:         40
        .size:           48
        .value_kind:     by_value
      - .offset:         88
        .size:           48
        .value_kind:     by_value
      - .offset:         136
        .size:           48
        .value_kind:     by_value
      - .offset:         184
        .size:           4
        .value_kind:     by_value
      - .offset:         188
        .size:           4
        .value_kind:     by_value
      - .offset:         192
        .size:           4
        .value_kind:     by_value
      - .offset:         196
        .size:           4
        .value_kind:     by_value
      - .offset:         200
        .size:           4
        .value_kind:     by_value
      - .offset:         204
        .size:           4
        .value_kind:     by_value
      - .offset:         208
        .size:           4
        .value_kind:     by_value
      - .offset:         212
        .size:           4
        .value_kind:     by_value
      - .offset:         216
        .size:           4
        .value_kind:     by_value
      - .offset:         220
        .size:           4
        .value_kind:     by_value
      - .offset:         224
        .size:           4
        .value_kind:     by_value
      - .offset:         228
        .size:           4
        .value_kind:     by_value
      - .offset:         232
        .size:           4
        .value_kind:     by_value
      - .offset:         236
        .size:           4
        .value_kind:     by_value
      - .offset:         240
        .size:           4
        .value_kind:     by_value
      - .offset:         244
        .size:           4
        .value_kind:     by_value
      - .offset:         248
        .size:           4
        .value_kind:     by_value
      - .offset:         252
        .size:           4
        .value_kind:     by_value
      - .offset:         256
        .size:           4
        .value_kind:     by_value
      - .offset:         260
        .size:           4
        .value_kind:     by_value
      - .offset:         264
        .size:           4
        .value_kind:     by_value
      - .offset:         268
        .size:           4
        .value_kind:     by_value
      - .offset:         272
        .size:           4
        .value_kind:     hidden_block_count_x
      - .offset:         276
        .size:           4
        .value_kind:     hidden_block_count_y
      - .offset:         280
        .size:           4
        .value_kind:     hidden_block_count_z
      - .offset:         284
        .size:           2
        .value_kind:     hidden_group_size_x
      - .offset:         286
        .size:           2
        .value_kind:     hidden_group_size_y
      - .offset:         288
        .size:           2
        .value_kind:     hidden_group_size_z
      - .offset:         290
        .size:           2
        .value_kind:     hidden_remainder_x
      - .offset:         292
        .size:           2
        .value_kind:     hidden_remainder_y
      - .offset:         294
        .size:           2
        .value_kind:     hidden_remainder_z
      - .offset:         312
        .size:           8
        .value_kind:     hidden_global_offset_x
      - .offset:         320
        .size:           8
        .value_kind:     hidden_global_offset_y
      - .offset:         328
        .size:           8
        .value_kind:     hidden_global_offset_z
      - .offset:         336
        .size:           2
        .value_kind:     hidden_grid_dims
    .group_segment_fixed_size: 0
    .kernarg_segment_align: 8
    .kernarg_segment_size: 528
    .language:       OpenCL C
    .language_version:
      - 2
      - 0
    .max_flat_workgroup_size: 1024
    .name:           naive_conv_ab_packed_bwd_ncdhw_half_double_half
    .private_segment_fixed_size: 0
    .sgpr_count:     86
    .sgpr_spill_count: 0
    .symbol:         naive_conv_ab_packed_bwd_ncdhw_half_double_half.kd
    .uniform_work_group_size: 1
    .uses_dynamic_stack: false
    .vgpr_count:     31
    .vgpr_spill_count: 0
    .wavefront_size: 64
  - .args:
      - .address_space:  global
        .offset:         0
        .size:           8
        .value_kind:     global_buffer
      - .actual_access:  read_only
        .address_space:  global
        .offset:         8
        .size:           8
        .value_kind:     global_buffer
      - .offset:         16
        .size:           8
        .value_kind:     by_value
      - .offset:         24
        .size:           8
        .value_kind:     by_value
      - .actual_access:  read_only
        .address_space:  global
        .offset:         32
        .size:           8
        .value_kind:     global_buffer
      - .offset:         40
        .size:           48
        .value_kind:     by_value
      - .offset:         88
        .size:           48
        .value_kind:     by_value
      - .offset:         136
        .size:           48
        .value_kind:     by_value
      - .offset:         184
        .size:           4
        .value_kind:     by_value
      - .offset:         188
        .size:           4
        .value_kind:     by_value
      - .offset:         192
        .size:           4
        .value_kind:     by_value
      - .offset:         196
        .size:           4
        .value_kind:     by_value
      - .offset:         200
        .size:           4
        .value_kind:     by_value
      - .offset:         204
        .size:           4
        .value_kind:     by_value
      - .offset:         208
        .size:           4
        .value_kind:     by_value
      - .offset:         212
        .size:           4
        .value_kind:     by_value
      - .offset:         216
        .size:           4
        .value_kind:     by_value
      - .offset:         220
        .size:           4
        .value_kind:     by_value
      - .offset:         224
        .size:           4
        .value_kind:     by_value
      - .offset:         228
        .size:           4
        .value_kind:     by_value
      - .offset:         232
        .size:           4
        .value_kind:     by_value
      - .offset:         236
        .size:           4
        .value_kind:     by_value
      - .offset:         240
        .size:           4
        .value_kind:     by_value
      - .offset:         244
        .size:           4
        .value_kind:     by_value
      - .offset:         248
        .size:           4
        .value_kind:     by_value
      - .offset:         252
        .size:           4
        .value_kind:     by_value
      - .offset:         256
        .size:           4
        .value_kind:     by_value
      - .offset:         260
        .size:           4
        .value_kind:     by_value
      - .offset:         264
        .size:           4
        .value_kind:     by_value
      - .offset:         268
        .size:           4
        .value_kind:     by_value
      - .offset:         272
        .size:           4
        .value_kind:     hidden_block_count_x
      - .offset:         276
        .size:           4
        .value_kind:     hidden_block_count_y
      - .offset:         280
        .size:           4
        .value_kind:     hidden_block_count_z
      - .offset:         284
        .size:           2
        .value_kind:     hidden_group_size_x
      - .offset:         286
        .size:           2
        .value_kind:     hidden_group_size_y
      - .offset:         288
        .size:           2
        .value_kind:     hidden_group_size_z
      - .offset:         290
        .size:           2
        .value_kind:     hidden_remainder_x
      - .offset:         292
        .size:           2
        .value_kind:     hidden_remainder_y
      - .offset:         294
        .size:           2
        .value_kind:     hidden_remainder_z
      - .offset:         312
        .size:           8
        .value_kind:     hidden_global_offset_x
      - .offset:         320
        .size:           8
        .value_kind:     hidden_global_offset_y
      - .offset:         328
        .size:           8
        .value_kind:     hidden_global_offset_z
      - .offset:         336
        .size:           2
        .value_kind:     hidden_grid_dims
    .group_segment_fixed_size: 0
    .kernarg_segment_align: 8
    .kernarg_segment_size: 528
    .language:       OpenCL C
    .language_version:
      - 2
      - 0
    .max_flat_workgroup_size: 1024
    .name:           naive_conv_ab_nonpacked_bwd_ncdhw_half_double_half
    .private_segment_fixed_size: 0
    .sgpr_count:     98
    .sgpr_spill_count: 0
    .symbol:         naive_conv_ab_nonpacked_bwd_ncdhw_half_double_half.kd
    .uniform_work_group_size: 1
    .uses_dynamic_stack: false
    .vgpr_count:     31
    .vgpr_spill_count: 0
    .wavefront_size: 64
  - .args:
      - .address_space:  global
        .offset:         0
        .size:           8
        .value_kind:     global_buffer
      - .actual_access:  read_only
        .address_space:  global
        .offset:         8
        .size:           8
        .value_kind:     global_buffer
      - .offset:         16
        .size:           8
        .value_kind:     by_value
      - .offset:         24
        .size:           8
        .value_kind:     by_value
      - .actual_access:  read_only
        .address_space:  global
        .offset:         32
        .size:           8
        .value_kind:     global_buffer
      - .offset:         40
        .size:           48
        .value_kind:     by_value
      - .offset:         88
        .size:           48
        .value_kind:     by_value
      - .offset:         136
        .size:           48
        .value_kind:     by_value
      - .offset:         184
        .size:           4
        .value_kind:     by_value
      - .offset:         188
        .size:           4
        .value_kind:     by_value
      - .offset:         192
        .size:           4
        .value_kind:     by_value
      - .offset:         196
        .size:           4
        .value_kind:     by_value
      - .offset:         200
        .size:           4
        .value_kind:     by_value
      - .offset:         204
        .size:           4
        .value_kind:     by_value
      - .offset:         208
        .size:           4
        .value_kind:     by_value
      - .offset:         212
        .size:           4
        .value_kind:     by_value
      - .offset:         216
        .size:           4
        .value_kind:     by_value
      - .offset:         220
        .size:           4
        .value_kind:     by_value
      - .offset:         224
        .size:           4
        .value_kind:     by_value
      - .offset:         228
        .size:           4
        .value_kind:     by_value
      - .offset:         232
        .size:           4
        .value_kind:     by_value
      - .offset:         236
        .size:           4
        .value_kind:     by_value
      - .offset:         240
        .size:           4
        .value_kind:     by_value
      - .offset:         244
        .size:           4
        .value_kind:     by_value
      - .offset:         248
        .size:           4
        .value_kind:     by_value
      - .offset:         252
        .size:           4
        .value_kind:     by_value
      - .offset:         256
        .size:           4
        .value_kind:     by_value
      - .offset:         260
        .size:           4
        .value_kind:     by_value
      - .offset:         264
        .size:           4
        .value_kind:     by_value
      - .offset:         268
        .size:           4
        .value_kind:     by_value
      - .offset:         272
        .size:           4
        .value_kind:     hidden_block_count_x
      - .offset:         276
        .size:           4
        .value_kind:     hidden_block_count_y
      - .offset:         280
        .size:           4
        .value_kind:     hidden_block_count_z
      - .offset:         284
        .size:           2
        .value_kind:     hidden_group_size_x
      - .offset:         286
        .size:           2
        .value_kind:     hidden_group_size_y
      - .offset:         288
        .size:           2
        .value_kind:     hidden_group_size_z
      - .offset:         290
        .size:           2
        .value_kind:     hidden_remainder_x
      - .offset:         292
        .size:           2
        .value_kind:     hidden_remainder_y
      - .offset:         294
        .size:           2
        .value_kind:     hidden_remainder_z
      - .offset:         312
        .size:           8
        .value_kind:     hidden_global_offset_x
      - .offset:         320
        .size:           8
        .value_kind:     hidden_global_offset_y
      - .offset:         328
        .size:           8
        .value_kind:     hidden_global_offset_z
      - .offset:         336
        .size:           2
        .value_kind:     hidden_grid_dims
    .group_segment_fixed_size: 0
    .kernarg_segment_align: 8
    .kernarg_segment_size: 528
    .language:       OpenCL C
    .language_version:
      - 2
      - 0
    .max_flat_workgroup_size: 1024
    .name:           naive_conv_ab_packed_bwd_ncdhw_ushort_double_ushort
    .private_segment_fixed_size: 0
    .sgpr_count:     83
    .sgpr_spill_count: 0
    .symbol:         naive_conv_ab_packed_bwd_ncdhw_ushort_double_ushort.kd
    .uniform_work_group_size: 1
    .uses_dynamic_stack: false
    .vgpr_count:     29
    .vgpr_spill_count: 0
    .wavefront_size: 64
  - .args:
      - .address_space:  global
        .offset:         0
        .size:           8
        .value_kind:     global_buffer
      - .actual_access:  read_only
        .address_space:  global
        .offset:         8
        .size:           8
        .value_kind:     global_buffer
      - .offset:         16
        .size:           8
        .value_kind:     by_value
      - .offset:         24
        .size:           8
        .value_kind:     by_value
      - .actual_access:  read_only
        .address_space:  global
        .offset:         32
        .size:           8
        .value_kind:     global_buffer
      - .offset:         40
        .size:           48
        .value_kind:     by_value
      - .offset:         88
        .size:           48
        .value_kind:     by_value
      - .offset:         136
        .size:           48
        .value_kind:     by_value
      - .offset:         184
        .size:           4
        .value_kind:     by_value
      - .offset:         188
        .size:           4
        .value_kind:     by_value
      - .offset:         192
        .size:           4
        .value_kind:     by_value
      - .offset:         196
        .size:           4
        .value_kind:     by_value
      - .offset:         200
        .size:           4
        .value_kind:     by_value
      - .offset:         204
        .size:           4
        .value_kind:     by_value
      - .offset:         208
        .size:           4
        .value_kind:     by_value
      - .offset:         212
        .size:           4
        .value_kind:     by_value
      - .offset:         216
        .size:           4
        .value_kind:     by_value
      - .offset:         220
        .size:           4
        .value_kind:     by_value
      - .offset:         224
        .size:           4
        .value_kind:     by_value
      - .offset:         228
        .size:           4
        .value_kind:     by_value
      - .offset:         232
        .size:           4
        .value_kind:     by_value
      - .offset:         236
        .size:           4
        .value_kind:     by_value
      - .offset:         240
        .size:           4
        .value_kind:     by_value
      - .offset:         244
        .size:           4
        .value_kind:     by_value
      - .offset:         248
        .size:           4
        .value_kind:     by_value
      - .offset:         252
        .size:           4
        .value_kind:     by_value
      - .offset:         256
        .size:           4
        .value_kind:     by_value
      - .offset:         260
        .size:           4
        .value_kind:     by_value
      - .offset:         264
        .size:           4
        .value_kind:     by_value
      - .offset:         268
        .size:           4
        .value_kind:     by_value
      - .offset:         272
        .size:           4
        .value_kind:     hidden_block_count_x
      - .offset:         276
        .size:           4
        .value_kind:     hidden_block_count_y
      - .offset:         280
        .size:           4
        .value_kind:     hidden_block_count_z
      - .offset:         284
        .size:           2
        .value_kind:     hidden_group_size_x
      - .offset:         286
        .size:           2
        .value_kind:     hidden_group_size_y
      - .offset:         288
        .size:           2
        .value_kind:     hidden_group_size_z
      - .offset:         290
        .size:           2
        .value_kind:     hidden_remainder_x
      - .offset:         292
        .size:           2
        .value_kind:     hidden_remainder_y
      - .offset:         294
        .size:           2
        .value_kind:     hidden_remainder_z
      - .offset:         312
        .size:           8
        .value_kind:     hidden_global_offset_x
      - .offset:         320
        .size:           8
        .value_kind:     hidden_global_offset_y
      - .offset:         328
        .size:           8
        .value_kind:     hidden_global_offset_z
      - .offset:         336
        .size:           2
        .value_kind:     hidden_grid_dims
    .group_segment_fixed_size: 0
    .kernarg_segment_align: 8
    .kernarg_segment_size: 528
    .language:       OpenCL C
    .language_version:
      - 2
      - 0
    .max_flat_workgroup_size: 1024
    .name:           naive_conv_ab_nonpacked_bwd_ncdhw_ushort_double_ushort
    .private_segment_fixed_size: 0
    .sgpr_count:     95
    .sgpr_spill_count: 0
    .symbol:         naive_conv_ab_nonpacked_bwd_ncdhw_ushort_double_ushort.kd
    .uniform_work_group_size: 1
    .uses_dynamic_stack: false
    .vgpr_count:     29
    .vgpr_spill_count: 0
    .wavefront_size: 64
  - .args:
      - .address_space:  global
        .offset:         0
        .size:           8
        .value_kind:     global_buffer
      - .actual_access:  read_only
        .address_space:  global
        .offset:         8
        .size:           8
        .value_kind:     global_buffer
      - .offset:         16
        .size:           8
        .value_kind:     by_value
      - .offset:         24
        .size:           8
        .value_kind:     by_value
      - .actual_access:  read_only
        .address_space:  global
        .offset:         32
        .size:           8
        .value_kind:     global_buffer
      - .offset:         40
        .size:           48
        .value_kind:     by_value
      - .offset:         88
        .size:           48
        .value_kind:     by_value
      - .offset:         136
        .size:           48
        .value_kind:     by_value
      - .offset:         184
        .size:           4
        .value_kind:     by_value
      - .offset:         188
        .size:           4
        .value_kind:     by_value
      - .offset:         192
        .size:           4
        .value_kind:     by_value
      - .offset:         196
        .size:           4
        .value_kind:     by_value
      - .offset:         200
        .size:           4
        .value_kind:     by_value
      - .offset:         204
        .size:           4
        .value_kind:     by_value
      - .offset:         208
        .size:           4
        .value_kind:     by_value
      - .offset:         212
        .size:           4
        .value_kind:     by_value
      - .offset:         216
        .size:           4
        .value_kind:     by_value
      - .offset:         220
        .size:           4
        .value_kind:     by_value
      - .offset:         224
        .size:           4
        .value_kind:     by_value
      - .offset:         228
        .size:           4
        .value_kind:     by_value
      - .offset:         232
        .size:           4
        .value_kind:     by_value
      - .offset:         236
        .size:           4
        .value_kind:     by_value
      - .offset:         240
        .size:           4
        .value_kind:     by_value
      - .offset:         244
        .size:           4
        .value_kind:     by_value
      - .offset:         248
        .size:           4
        .value_kind:     by_value
      - .offset:         252
        .size:           4
        .value_kind:     by_value
      - .offset:         256
        .size:           4
        .value_kind:     by_value
      - .offset:         260
        .size:           4
        .value_kind:     by_value
      - .offset:         264
        .size:           4
        .value_kind:     by_value
      - .offset:         268
        .size:           4
        .value_kind:     by_value
      - .offset:         272
        .size:           4
        .value_kind:     hidden_block_count_x
      - .offset:         276
        .size:           4
        .value_kind:     hidden_block_count_y
      - .offset:         280
        .size:           4
        .value_kind:     hidden_block_count_z
      - .offset:         284
        .size:           2
        .value_kind:     hidden_group_size_x
      - .offset:         286
        .size:           2
        .value_kind:     hidden_group_size_y
      - .offset:         288
        .size:           2
        .value_kind:     hidden_group_size_z
      - .offset:         290
        .size:           2
        .value_kind:     hidden_remainder_x
      - .offset:         292
        .size:           2
        .value_kind:     hidden_remainder_y
      - .offset:         294
        .size:           2
        .value_kind:     hidden_remainder_z
      - .offset:         312
        .size:           8
        .value_kind:     hidden_global_offset_x
      - .offset:         320
        .size:           8
        .value_kind:     hidden_global_offset_y
      - .offset:         328
        .size:           8
        .value_kind:     hidden_global_offset_z
      - .offset:         336
        .size:           2
        .value_kind:     hidden_grid_dims
    .group_segment_fixed_size: 0
    .kernarg_segment_align: 8
    .kernarg_segment_size: 528
    .language:       OpenCL C
    .language_version:
      - 2
      - 0
    .max_flat_workgroup_size: 1024
    .name:           naive_conv_ab_packed_bwd_ndhwc_float_double_float
    .private_segment_fixed_size: 0
    .sgpr_count:     84
    .sgpr_spill_count: 0
    .symbol:         naive_conv_ab_packed_bwd_ndhwc_float_double_float.kd
    .uniform_work_group_size: 1
    .uses_dynamic_stack: false
    .vgpr_count:     30
    .vgpr_spill_count: 0
    .wavefront_size: 64
  - .args:
      - .address_space:  global
        .offset:         0
        .size:           8
        .value_kind:     global_buffer
      - .actual_access:  read_only
        .address_space:  global
        .offset:         8
        .size:           8
        .value_kind:     global_buffer
      - .offset:         16
        .size:           8
        .value_kind:     by_value
      - .offset:         24
        .size:           8
        .value_kind:     by_value
      - .actual_access:  read_only
        .address_space:  global
        .offset:         32
        .size:           8
        .value_kind:     global_buffer
      - .offset:         40
        .size:           48
        .value_kind:     by_value
      - .offset:         88
        .size:           48
        .value_kind:     by_value
      - .offset:         136
        .size:           48
        .value_kind:     by_value
      - .offset:         184
        .size:           4
        .value_kind:     by_value
      - .offset:         188
        .size:           4
        .value_kind:     by_value
      - .offset:         192
        .size:           4
        .value_kind:     by_value
      - .offset:         196
        .size:           4
        .value_kind:     by_value
      - .offset:         200
        .size:           4
        .value_kind:     by_value
      - .offset:         204
        .size:           4
        .value_kind:     by_value
      - .offset:         208
        .size:           4
        .value_kind:     by_value
      - .offset:         212
        .size:           4
        .value_kind:     by_value
      - .offset:         216
        .size:           4
        .value_kind:     by_value
      - .offset:         220
        .size:           4
        .value_kind:     by_value
      - .offset:         224
        .size:           4
        .value_kind:     by_value
      - .offset:         228
        .size:           4
        .value_kind:     by_value
      - .offset:         232
        .size:           4
        .value_kind:     by_value
      - .offset:         236
        .size:           4
        .value_kind:     by_value
      - .offset:         240
        .size:           4
        .value_kind:     by_value
      - .offset:         244
        .size:           4
        .value_kind:     by_value
      - .offset:         248
        .size:           4
        .value_kind:     by_value
      - .offset:         252
        .size:           4
        .value_kind:     by_value
      - .offset:         256
        .size:           4
        .value_kind:     by_value
      - .offset:         260
        .size:           4
        .value_kind:     by_value
      - .offset:         264
        .size:           4
        .value_kind:     by_value
      - .offset:         268
        .size:           4
        .value_kind:     by_value
      - .offset:         272
        .size:           4
        .value_kind:     hidden_block_count_x
      - .offset:         276
        .size:           4
        .value_kind:     hidden_block_count_y
      - .offset:         280
        .size:           4
        .value_kind:     hidden_block_count_z
      - .offset:         284
        .size:           2
        .value_kind:     hidden_group_size_x
      - .offset:         286
        .size:           2
        .value_kind:     hidden_group_size_y
      - .offset:         288
        .size:           2
        .value_kind:     hidden_group_size_z
      - .offset:         290
        .size:           2
        .value_kind:     hidden_remainder_x
      - .offset:         292
        .size:           2
        .value_kind:     hidden_remainder_y
      - .offset:         294
        .size:           2
        .value_kind:     hidden_remainder_z
      - .offset:         312
        .size:           8
        .value_kind:     hidden_global_offset_x
      - .offset:         320
        .size:           8
        .value_kind:     hidden_global_offset_y
      - .offset:         328
        .size:           8
        .value_kind:     hidden_global_offset_z
      - .offset:         336
        .size:           2
        .value_kind:     hidden_grid_dims
    .group_segment_fixed_size: 0
    .kernarg_segment_align: 8
    .kernarg_segment_size: 528
    .language:       OpenCL C
    .language_version:
      - 2
      - 0
    .max_flat_workgroup_size: 1024
    .name:           naive_conv_ab_nonpacked_bwd_ndhwc_float_double_float
    .private_segment_fixed_size: 0
    .sgpr_count:     96
    .sgpr_spill_count: 0
    .symbol:         naive_conv_ab_nonpacked_bwd_ndhwc_float_double_float.kd
    .uniform_work_group_size: 1
    .uses_dynamic_stack: false
    .vgpr_count:     31
    .vgpr_spill_count: 0
    .wavefront_size: 64
  - .args:
      - .address_space:  global
        .offset:         0
        .size:           8
        .value_kind:     global_buffer
      - .actual_access:  read_only
        .address_space:  global
        .offset:         8
        .size:           8
        .value_kind:     global_buffer
      - .offset:         16
        .size:           8
        .value_kind:     by_value
      - .offset:         24
        .size:           8
        .value_kind:     by_value
      - .actual_access:  read_only
        .address_space:  global
        .offset:         32
        .size:           8
        .value_kind:     global_buffer
      - .offset:         40
        .size:           48
        .value_kind:     by_value
      - .offset:         88
        .size:           48
        .value_kind:     by_value
      - .offset:         136
        .size:           48
        .value_kind:     by_value
      - .offset:         184
        .size:           4
        .value_kind:     by_value
      - .offset:         188
        .size:           4
        .value_kind:     by_value
      - .offset:         192
        .size:           4
        .value_kind:     by_value
      - .offset:         196
        .size:           4
        .value_kind:     by_value
      - .offset:         200
        .size:           4
        .value_kind:     by_value
      - .offset:         204
        .size:           4
        .value_kind:     by_value
      - .offset:         208
        .size:           4
        .value_kind:     by_value
      - .offset:         212
        .size:           4
        .value_kind:     by_value
      - .offset:         216
        .size:           4
        .value_kind:     by_value
      - .offset:         220
        .size:           4
        .value_kind:     by_value
      - .offset:         224
        .size:           4
        .value_kind:     by_value
      - .offset:         228
        .size:           4
        .value_kind:     by_value
      - .offset:         232
        .size:           4
        .value_kind:     by_value
      - .offset:         236
        .size:           4
        .value_kind:     by_value
      - .offset:         240
        .size:           4
        .value_kind:     by_value
      - .offset:         244
        .size:           4
        .value_kind:     by_value
      - .offset:         248
        .size:           4
        .value_kind:     by_value
      - .offset:         252
        .size:           4
        .value_kind:     by_value
      - .offset:         256
        .size:           4
        .value_kind:     by_value
      - .offset:         260
        .size:           4
        .value_kind:     by_value
      - .offset:         264
        .size:           4
        .value_kind:     by_value
      - .offset:         268
        .size:           4
        .value_kind:     by_value
      - .offset:         272
        .size:           4
        .value_kind:     hidden_block_count_x
      - .offset:         276
        .size:           4
        .value_kind:     hidden_block_count_y
      - .offset:         280
        .size:           4
        .value_kind:     hidden_block_count_z
      - .offset:         284
        .size:           2
        .value_kind:     hidden_group_size_x
      - .offset:         286
        .size:           2
        .value_kind:     hidden_group_size_y
      - .offset:         288
        .size:           2
        .value_kind:     hidden_group_size_z
      - .offset:         290
        .size:           2
        .value_kind:     hidden_remainder_x
      - .offset:         292
        .size:           2
        .value_kind:     hidden_remainder_y
      - .offset:         294
        .size:           2
        .value_kind:     hidden_remainder_z
      - .offset:         312
        .size:           8
        .value_kind:     hidden_global_offset_x
      - .offset:         320
        .size:           8
        .value_kind:     hidden_global_offset_y
      - .offset:         328
        .size:           8
        .value_kind:     hidden_global_offset_z
      - .offset:         336
        .size:           2
        .value_kind:     hidden_grid_dims
    .group_segment_fixed_size: 0
    .kernarg_segment_align: 8
    .kernarg_segment_size: 528
    .language:       OpenCL C
    .language_version:
      - 2
      - 0
    .max_flat_workgroup_size: 1024
    .name:           naive_conv_ab_packed_bwd_ndhwc_half_double_half
    .private_segment_fixed_size: 0
    .sgpr_count:     88
    .sgpr_spill_count: 0
    .symbol:         naive_conv_ab_packed_bwd_ndhwc_half_double_half.kd
    .uniform_work_group_size: 1
    .uses_dynamic_stack: false
    .vgpr_count:     33
    .vgpr_spill_count: 0
    .wavefront_size: 64
  - .args:
      - .address_space:  global
        .offset:         0
        .size:           8
        .value_kind:     global_buffer
      - .actual_access:  read_only
        .address_space:  global
        .offset:         8
        .size:           8
        .value_kind:     global_buffer
      - .offset:         16
        .size:           8
        .value_kind:     by_value
      - .offset:         24
        .size:           8
        .value_kind:     by_value
      - .actual_access:  read_only
        .address_space:  global
        .offset:         32
        .size:           8
        .value_kind:     global_buffer
      - .offset:         40
        .size:           48
        .value_kind:     by_value
      - .offset:         88
        .size:           48
        .value_kind:     by_value
      - .offset:         136
        .size:           48
        .value_kind:     by_value
      - .offset:         184
        .size:           4
        .value_kind:     by_value
      - .offset:         188
        .size:           4
        .value_kind:     by_value
      - .offset:         192
        .size:           4
        .value_kind:     by_value
      - .offset:         196
        .size:           4
        .value_kind:     by_value
      - .offset:         200
        .size:           4
        .value_kind:     by_value
      - .offset:         204
        .size:           4
        .value_kind:     by_value
      - .offset:         208
        .size:           4
        .value_kind:     by_value
      - .offset:         212
        .size:           4
        .value_kind:     by_value
      - .offset:         216
        .size:           4
        .value_kind:     by_value
      - .offset:         220
        .size:           4
        .value_kind:     by_value
      - .offset:         224
        .size:           4
        .value_kind:     by_value
      - .offset:         228
        .size:           4
        .value_kind:     by_value
      - .offset:         232
        .size:           4
        .value_kind:     by_value
      - .offset:         236
        .size:           4
        .value_kind:     by_value
      - .offset:         240
        .size:           4
        .value_kind:     by_value
      - .offset:         244
        .size:           4
        .value_kind:     by_value
      - .offset:         248
        .size:           4
        .value_kind:     by_value
      - .offset:         252
        .size:           4
        .value_kind:     by_value
      - .offset:         256
        .size:           4
        .value_kind:     by_value
      - .offset:         260
        .size:           4
        .value_kind:     by_value
      - .offset:         264
        .size:           4
        .value_kind:     by_value
      - .offset:         268
        .size:           4
        .value_kind:     by_value
      - .offset:         272
        .size:           4
        .value_kind:     hidden_block_count_x
      - .offset:         276
        .size:           4
        .value_kind:     hidden_block_count_y
      - .offset:         280
        .size:           4
        .value_kind:     hidden_block_count_z
      - .offset:         284
        .size:           2
        .value_kind:     hidden_group_size_x
      - .offset:         286
        .size:           2
        .value_kind:     hidden_group_size_y
      - .offset:         288
        .size:           2
        .value_kind:     hidden_group_size_z
      - .offset:         290
        .size:           2
        .value_kind:     hidden_remainder_x
      - .offset:         292
        .size:           2
        .value_kind:     hidden_remainder_y
      - .offset:         294
        .size:           2
        .value_kind:     hidden_remainder_z
      - .offset:         312
        .size:           8
        .value_kind:     hidden_global_offset_x
      - .offset:         320
        .size:           8
        .value_kind:     hidden_global_offset_y
      - .offset:         328
        .size:           8
        .value_kind:     hidden_global_offset_z
      - .offset:         336
        .size:           2
        .value_kind:     hidden_grid_dims
    .group_segment_fixed_size: 0
    .kernarg_segment_align: 8
    .kernarg_segment_size: 528
    .language:       OpenCL C
    .language_version:
      - 2
      - 0
    .max_flat_workgroup_size: 1024
    .name:           naive_conv_ab_nonpacked_bwd_ndhwc_half_double_half
    .private_segment_fixed_size: 0
    .sgpr_count:     96
    .sgpr_spill_count: 0
    .symbol:         naive_conv_ab_nonpacked_bwd_ndhwc_half_double_half.kd
    .uniform_work_group_size: 1
    .uses_dynamic_stack: false
    .vgpr_count:     33
    .vgpr_spill_count: 0
    .wavefront_size: 64
  - .args:
      - .address_space:  global
        .offset:         0
        .size:           8
        .value_kind:     global_buffer
      - .actual_access:  read_only
        .address_space:  global
        .offset:         8
        .size:           8
        .value_kind:     global_buffer
      - .offset:         16
        .size:           8
        .value_kind:     by_value
      - .offset:         24
        .size:           8
        .value_kind:     by_value
      - .actual_access:  read_only
        .address_space:  global
        .offset:         32
        .size:           8
        .value_kind:     global_buffer
      - .offset:         40
        .size:           48
        .value_kind:     by_value
      - .offset:         88
        .size:           48
        .value_kind:     by_value
      - .offset:         136
        .size:           48
        .value_kind:     by_value
      - .offset:         184
        .size:           4
        .value_kind:     by_value
      - .offset:         188
        .size:           4
        .value_kind:     by_value
      - .offset:         192
        .size:           4
        .value_kind:     by_value
      - .offset:         196
        .size:           4
        .value_kind:     by_value
      - .offset:         200
        .size:           4
        .value_kind:     by_value
      - .offset:         204
        .size:           4
        .value_kind:     by_value
      - .offset:         208
        .size:           4
        .value_kind:     by_value
      - .offset:         212
        .size:           4
        .value_kind:     by_value
      - .offset:         216
        .size:           4
        .value_kind:     by_value
      - .offset:         220
        .size:           4
        .value_kind:     by_value
      - .offset:         224
        .size:           4
        .value_kind:     by_value
      - .offset:         228
        .size:           4
        .value_kind:     by_value
      - .offset:         232
        .size:           4
        .value_kind:     by_value
      - .offset:         236
        .size:           4
        .value_kind:     by_value
      - .offset:         240
        .size:           4
        .value_kind:     by_value
      - .offset:         244
        .size:           4
        .value_kind:     by_value
      - .offset:         248
        .size:           4
        .value_kind:     by_value
      - .offset:         252
        .size:           4
        .value_kind:     by_value
      - .offset:         256
        .size:           4
        .value_kind:     by_value
      - .offset:         260
        .size:           4
        .value_kind:     by_value
      - .offset:         264
        .size:           4
        .value_kind:     by_value
      - .offset:         268
        .size:           4
        .value_kind:     by_value
      - .offset:         272
        .size:           4
        .value_kind:     hidden_block_count_x
      - .offset:         276
        .size:           4
        .value_kind:     hidden_block_count_y
      - .offset:         280
        .size:           4
        .value_kind:     hidden_block_count_z
      - .offset:         284
        .size:           2
        .value_kind:     hidden_group_size_x
      - .offset:         286
        .size:           2
        .value_kind:     hidden_group_size_y
      - .offset:         288
        .size:           2
        .value_kind:     hidden_group_size_z
      - .offset:         290
        .size:           2
        .value_kind:     hidden_remainder_x
      - .offset:         292
        .size:           2
        .value_kind:     hidden_remainder_y
      - .offset:         294
        .size:           2
        .value_kind:     hidden_remainder_z
      - .offset:         312
        .size:           8
        .value_kind:     hidden_global_offset_x
      - .offset:         320
        .size:           8
        .value_kind:     hidden_global_offset_y
      - .offset:         328
        .size:           8
        .value_kind:     hidden_global_offset_z
      - .offset:         336
        .size:           2
        .value_kind:     hidden_grid_dims
    .group_segment_fixed_size: 0
    .kernarg_segment_align: 8
    .kernarg_segment_size: 528
    .language:       OpenCL C
    .language_version:
      - 2
      - 0
    .max_flat_workgroup_size: 1024
    .name:           naive_conv_ab_packed_bwd_ndhwc_ushort_double_ushort
    .private_segment_fixed_size: 0
    .sgpr_count:     84
    .sgpr_spill_count: 0
    .symbol:         naive_conv_ab_packed_bwd_ndhwc_ushort_double_ushort.kd
    .uniform_work_group_size: 1
    .uses_dynamic_stack: false
    .vgpr_count:     32
    .vgpr_spill_count: 0
    .wavefront_size: 64
  - .args:
      - .address_space:  global
        .offset:         0
        .size:           8
        .value_kind:     global_buffer
      - .actual_access:  read_only
        .address_space:  global
        .offset:         8
        .size:           8
        .value_kind:     global_buffer
      - .offset:         16
        .size:           8
        .value_kind:     by_value
      - .offset:         24
        .size:           8
        .value_kind:     by_value
      - .actual_access:  read_only
        .address_space:  global
        .offset:         32
        .size:           8
        .value_kind:     global_buffer
      - .offset:         40
        .size:           48
        .value_kind:     by_value
      - .offset:         88
        .size:           48
        .value_kind:     by_value
      - .offset:         136
        .size:           48
        .value_kind:     by_value
      - .offset:         184
        .size:           4
        .value_kind:     by_value
      - .offset:         188
        .size:           4
        .value_kind:     by_value
      - .offset:         192
        .size:           4
        .value_kind:     by_value
      - .offset:         196
        .size:           4
        .value_kind:     by_value
      - .offset:         200
        .size:           4
        .value_kind:     by_value
      - .offset:         204
        .size:           4
        .value_kind:     by_value
      - .offset:         208
        .size:           4
        .value_kind:     by_value
      - .offset:         212
        .size:           4
        .value_kind:     by_value
      - .offset:         216
        .size:           4
        .value_kind:     by_value
      - .offset:         220
        .size:           4
        .value_kind:     by_value
      - .offset:         224
        .size:           4
        .value_kind:     by_value
      - .offset:         228
        .size:           4
        .value_kind:     by_value
      - .offset:         232
        .size:           4
        .value_kind:     by_value
      - .offset:         236
        .size:           4
        .value_kind:     by_value
      - .offset:         240
        .size:           4
        .value_kind:     by_value
      - .offset:         244
        .size:           4
        .value_kind:     by_value
      - .offset:         248
        .size:           4
        .value_kind:     by_value
      - .offset:         252
        .size:           4
        .value_kind:     by_value
      - .offset:         256
        .size:           4
        .value_kind:     by_value
      - .offset:         260
        .size:           4
        .value_kind:     by_value
      - .offset:         264
        .size:           4
        .value_kind:     by_value
      - .offset:         268
        .size:           4
        .value_kind:     by_value
      - .offset:         272
        .size:           4
        .value_kind:     hidden_block_count_x
      - .offset:         276
        .size:           4
        .value_kind:     hidden_block_count_y
      - .offset:         280
        .size:           4
        .value_kind:     hidden_block_count_z
      - .offset:         284
        .size:           2
        .value_kind:     hidden_group_size_x
      - .offset:         286
        .size:           2
        .value_kind:     hidden_group_size_y
      - .offset:         288
        .size:           2
        .value_kind:     hidden_group_size_z
      - .offset:         290
        .size:           2
        .value_kind:     hidden_remainder_x
      - .offset:         292
        .size:           2
        .value_kind:     hidden_remainder_y
      - .offset:         294
        .size:           2
        .value_kind:     hidden_remainder_z
      - .offset:         312
        .size:           8
        .value_kind:     hidden_global_offset_x
      - .offset:         320
        .size:           8
        .value_kind:     hidden_global_offset_y
      - .offset:         328
        .size:           8
        .value_kind:     hidden_global_offset_z
      - .offset:         336
        .size:           2
        .value_kind:     hidden_grid_dims
    .group_segment_fixed_size: 0
    .kernarg_segment_align: 8
    .kernarg_segment_size: 528
    .language:       OpenCL C
    .language_version:
      - 2
      - 0
    .max_flat_workgroup_size: 1024
    .name:           naive_conv_ab_nonpacked_bwd_ndhwc_ushort_double_ushort
    .private_segment_fixed_size: 0
    .sgpr_count:     96
    .sgpr_spill_count: 0
    .symbol:         naive_conv_ab_nonpacked_bwd_ndhwc_ushort_double_ushort.kd
    .uniform_work_group_size: 1
    .uses_dynamic_stack: false
    .vgpr_count:     32
    .vgpr_spill_count: 0
    .wavefront_size: 64
  - .args:
      - .actual_access:  read_only
        .address_space:  global
        .offset:         0
        .size:           8
        .value_kind:     global_buffer
      - .address_space:  global
        .offset:         8
        .size:           8
        .value_kind:     global_buffer
      - .offset:         16
        .size:           8
        .value_kind:     by_value
      - .offset:         24
        .size:           8
        .value_kind:     by_value
      - .actual_access:  read_only
        .address_space:  global
        .offset:         32
        .size:           8
        .value_kind:     global_buffer
      - .offset:         40
        .size:           48
        .value_kind:     by_value
      - .offset:         88
        .size:           48
        .value_kind:     by_value
      - .offset:         136
        .size:           48
        .value_kind:     by_value
      - .offset:         184
        .size:           4
        .value_kind:     by_value
      - .offset:         188
        .size:           4
        .value_kind:     by_value
      - .offset:         192
        .size:           4
        .value_kind:     by_value
      - .offset:         196
        .size:           4
        .value_kind:     by_value
      - .offset:         200
        .size:           4
        .value_kind:     by_value
      - .offset:         204
        .size:           4
        .value_kind:     by_value
      - .offset:         208
        .size:           4
        .value_kind:     by_value
      - .offset:         212
        .size:           4
        .value_kind:     by_value
      - .offset:         216
        .size:           4
        .value_kind:     by_value
      - .offset:         220
        .size:           4
        .value_kind:     by_value
      - .offset:         224
        .size:           4
        .value_kind:     by_value
      - .offset:         228
        .size:           4
        .value_kind:     by_value
      - .offset:         232
        .size:           4
        .value_kind:     by_value
      - .offset:         236
        .size:           4
        .value_kind:     by_value
      - .offset:         240
        .size:           4
        .value_kind:     by_value
      - .offset:         244
        .size:           4
        .value_kind:     by_value
      - .offset:         248
        .size:           4
        .value_kind:     by_value
      - .offset:         252
        .size:           4
        .value_kind:     by_value
      - .offset:         256
        .size:           4
        .value_kind:     by_value
      - .offset:         260
        .size:           4
        .value_kind:     by_value
      - .offset:         264
        .size:           4
        .value_kind:     by_value
      - .offset:         268
        .size:           4
        .value_kind:     by_value
      - .offset:         272
        .size:           4
        .value_kind:     hidden_block_count_x
      - .offset:         276
        .size:           4
        .value_kind:     hidden_block_count_y
      - .offset:         280
        .size:           4
        .value_kind:     hidden_block_count_z
      - .offset:         284
        .size:           2
        .value_kind:     hidden_group_size_x
      - .offset:         286
        .size:           2
        .value_kind:     hidden_group_size_y
      - .offset:         288
        .size:           2
        .value_kind:     hidden_group_size_z
      - .offset:         290
        .size:           2
        .value_kind:     hidden_remainder_x
      - .offset:         292
        .size:           2
        .value_kind:     hidden_remainder_y
      - .offset:         294
        .size:           2
        .value_kind:     hidden_remainder_z
      - .offset:         312
        .size:           8
        .value_kind:     hidden_global_offset_x
      - .offset:         320
        .size:           8
        .value_kind:     hidden_global_offset_y
      - .offset:         328
        .size:           8
        .value_kind:     hidden_global_offset_z
      - .offset:         336
        .size:           2
        .value_kind:     hidden_grid_dims
    .group_segment_fixed_size: 0
    .kernarg_segment_align: 8
    .kernarg_segment_size: 528
    .language:       OpenCL C
    .language_version:
      - 2
      - 0
    .max_flat_workgroup_size: 1024
    .name:           naive_conv_ab_packed_wrw_ncdhw_float_double_float
    .private_segment_fixed_size: 0
    .sgpr_count:     90
    .sgpr_spill_count: 0
    .symbol:         naive_conv_ab_packed_wrw_ncdhw_float_double_float.kd
    .uniform_work_group_size: 1
    .uses_dynamic_stack: false
    .vgpr_count:     28
    .vgpr_spill_count: 0
    .wavefront_size: 64
  - .args:
      - .actual_access:  read_only
        .address_space:  global
        .offset:         0
        .size:           8
        .value_kind:     global_buffer
      - .address_space:  global
        .offset:         8
        .size:           8
        .value_kind:     global_buffer
      - .offset:         16
        .size:           8
        .value_kind:     by_value
      - .offset:         24
        .size:           8
        .value_kind:     by_value
      - .actual_access:  read_only
        .address_space:  global
        .offset:         32
        .size:           8
        .value_kind:     global_buffer
      - .offset:         40
        .size:           48
        .value_kind:     by_value
      - .offset:         88
        .size:           48
        .value_kind:     by_value
      - .offset:         136
        .size:           48
        .value_kind:     by_value
      - .offset:         184
        .size:           4
        .value_kind:     by_value
      - .offset:         188
        .size:           4
        .value_kind:     by_value
      - .offset:         192
        .size:           4
        .value_kind:     by_value
      - .offset:         196
        .size:           4
        .value_kind:     by_value
      - .offset:         200
        .size:           4
        .value_kind:     by_value
      - .offset:         204
        .size:           4
        .value_kind:     by_value
      - .offset:         208
        .size:           4
        .value_kind:     by_value
      - .offset:         212
        .size:           4
        .value_kind:     by_value
      - .offset:         216
        .size:           4
        .value_kind:     by_value
      - .offset:         220
        .size:           4
        .value_kind:     by_value
      - .offset:         224
        .size:           4
        .value_kind:     by_value
      - .offset:         228
        .size:           4
        .value_kind:     by_value
      - .offset:         232
        .size:           4
        .value_kind:     by_value
      - .offset:         236
        .size:           4
        .value_kind:     by_value
      - .offset:         240
        .size:           4
        .value_kind:     by_value
      - .offset:         244
        .size:           4
        .value_kind:     by_value
      - .offset:         248
        .size:           4
        .value_kind:     by_value
      - .offset:         252
        .size:           4
        .value_kind:     by_value
      - .offset:         256
        .size:           4
        .value_kind:     by_value
      - .offset:         260
        .size:           4
        .value_kind:     by_value
      - .offset:         264
        .size:           4
        .value_kind:     by_value
      - .offset:         268
        .size:           4
        .value_kind:     by_value
      - .offset:         272
        .size:           4
        .value_kind:     hidden_block_count_x
      - .offset:         276
        .size:           4
        .value_kind:     hidden_block_count_y
      - .offset:         280
        .size:           4
        .value_kind:     hidden_block_count_z
      - .offset:         284
        .size:           2
        .value_kind:     hidden_group_size_x
      - .offset:         286
        .size:           2
        .value_kind:     hidden_group_size_y
      - .offset:         288
        .size:           2
        .value_kind:     hidden_group_size_z
      - .offset:         290
        .size:           2
        .value_kind:     hidden_remainder_x
      - .offset:         292
        .size:           2
        .value_kind:     hidden_remainder_y
      - .offset:         294
        .size:           2
        .value_kind:     hidden_remainder_z
      - .offset:         312
        .size:           8
        .value_kind:     hidden_global_offset_x
      - .offset:         320
        .size:           8
        .value_kind:     hidden_global_offset_y
      - .offset:         328
        .size:           8
        .value_kind:     hidden_global_offset_z
      - .offset:         336
        .size:           2
        .value_kind:     hidden_grid_dims
    .group_segment_fixed_size: 0
    .kernarg_segment_align: 8
    .kernarg_segment_size: 528
    .language:       OpenCL C
    .language_version:
      - 2
      - 0
    .max_flat_workgroup_size: 1024
    .name:           naive_conv_ab_nonpacked_wrw_ncdhw_float_double_float
    .private_segment_fixed_size: 0
    .sgpr_count:     100
    .sgpr_spill_count: 0
    .symbol:         naive_conv_ab_nonpacked_wrw_ncdhw_float_double_float.kd
    .uniform_work_group_size: 1
    .uses_dynamic_stack: false
    .vgpr_count:     29
    .vgpr_spill_count: 0
    .wavefront_size: 64
  - .args:
      - .actual_access:  read_only
        .address_space:  global
        .offset:         0
        .size:           8
        .value_kind:     global_buffer
      - .address_space:  global
        .offset:         8
        .size:           8
        .value_kind:     global_buffer
      - .offset:         16
        .size:           8
        .value_kind:     by_value
      - .offset:         24
        .size:           8
        .value_kind:     by_value
      - .actual_access:  read_only
        .address_space:  global
        .offset:         32
        .size:           8
        .value_kind:     global_buffer
      - .offset:         40
        .size:           48
        .value_kind:     by_value
      - .offset:         88
        .size:           48
        .value_kind:     by_value
      - .offset:         136
        .size:           48
        .value_kind:     by_value
      - .offset:         184
        .size:           4
        .value_kind:     by_value
      - .offset:         188
        .size:           4
        .value_kind:     by_value
      - .offset:         192
        .size:           4
        .value_kind:     by_value
      - .offset:         196
        .size:           4
        .value_kind:     by_value
      - .offset:         200
        .size:           4
        .value_kind:     by_value
      - .offset:         204
        .size:           4
        .value_kind:     by_value
      - .offset:         208
        .size:           4
        .value_kind:     by_value
      - .offset:         212
        .size:           4
        .value_kind:     by_value
      - .offset:         216
        .size:           4
        .value_kind:     by_value
      - .offset:         220
        .size:           4
        .value_kind:     by_value
      - .offset:         224
        .size:           4
        .value_kind:     by_value
      - .offset:         228
        .size:           4
        .value_kind:     by_value
      - .offset:         232
        .size:           4
        .value_kind:     by_value
      - .offset:         236
        .size:           4
        .value_kind:     by_value
      - .offset:         240
        .size:           4
        .value_kind:     by_value
      - .offset:         244
        .size:           4
        .value_kind:     by_value
      - .offset:         248
        .size:           4
        .value_kind:     by_value
      - .offset:         252
        .size:           4
        .value_kind:     by_value
      - .offset:         256
        .size:           4
        .value_kind:     by_value
      - .offset:         260
        .size:           4
        .value_kind:     by_value
      - .offset:         264
        .size:           4
        .value_kind:     by_value
      - .offset:         268
        .size:           4
        .value_kind:     by_value
      - .offset:         272
        .size:           4
        .value_kind:     hidden_block_count_x
      - .offset:         276
        .size:           4
        .value_kind:     hidden_block_count_y
      - .offset:         280
        .size:           4
        .value_kind:     hidden_block_count_z
      - .offset:         284
        .size:           2
        .value_kind:     hidden_group_size_x
      - .offset:         286
        .size:           2
        .value_kind:     hidden_group_size_y
      - .offset:         288
        .size:           2
        .value_kind:     hidden_group_size_z
      - .offset:         290
        .size:           2
        .value_kind:     hidden_remainder_x
      - .offset:         292
        .size:           2
        .value_kind:     hidden_remainder_y
      - .offset:         294
        .size:           2
        .value_kind:     hidden_remainder_z
      - .offset:         312
        .size:           8
        .value_kind:     hidden_global_offset_x
      - .offset:         320
        .size:           8
        .value_kind:     hidden_global_offset_y
      - .offset:         328
        .size:           8
        .value_kind:     hidden_global_offset_z
      - .offset:         336
        .size:           2
        .value_kind:     hidden_grid_dims
    .group_segment_fixed_size: 0
    .kernarg_segment_align: 8
    .kernarg_segment_size: 528
    .language:       OpenCL C
    .language_version:
      - 2
      - 0
    .max_flat_workgroup_size: 1024
    .name:           naive_conv_ab_packed_wrw_ncdhw_half_double_half
    .private_segment_fixed_size: 0
    .sgpr_count:     94
    .sgpr_spill_count: 0
    .symbol:         naive_conv_ab_packed_wrw_ncdhw_half_double_half.kd
    .uniform_work_group_size: 1
    .uses_dynamic_stack: false
    .vgpr_count:     30
    .vgpr_spill_count: 0
    .wavefront_size: 64
  - .args:
      - .actual_access:  read_only
        .address_space:  global
        .offset:         0
        .size:           8
        .value_kind:     global_buffer
      - .address_space:  global
        .offset:         8
        .size:           8
        .value_kind:     global_buffer
      - .offset:         16
        .size:           8
        .value_kind:     by_value
      - .offset:         24
        .size:           8
        .value_kind:     by_value
      - .actual_access:  read_only
        .address_space:  global
        .offset:         32
        .size:           8
        .value_kind:     global_buffer
      - .offset:         40
        .size:           48
        .value_kind:     by_value
      - .offset:         88
        .size:           48
        .value_kind:     by_value
      - .offset:         136
        .size:           48
        .value_kind:     by_value
      - .offset:         184
        .size:           4
        .value_kind:     by_value
      - .offset:         188
        .size:           4
        .value_kind:     by_value
      - .offset:         192
        .size:           4
        .value_kind:     by_value
      - .offset:         196
        .size:           4
        .value_kind:     by_value
      - .offset:         200
        .size:           4
        .value_kind:     by_value
      - .offset:         204
        .size:           4
        .value_kind:     by_value
      - .offset:         208
        .size:           4
        .value_kind:     by_value
      - .offset:         212
        .size:           4
        .value_kind:     by_value
      - .offset:         216
        .size:           4
        .value_kind:     by_value
      - .offset:         220
        .size:           4
        .value_kind:     by_value
      - .offset:         224
        .size:           4
        .value_kind:     by_value
      - .offset:         228
        .size:           4
        .value_kind:     by_value
      - .offset:         232
        .size:           4
        .value_kind:     by_value
      - .offset:         236
        .size:           4
        .value_kind:     by_value
      - .offset:         240
        .size:           4
        .value_kind:     by_value
      - .offset:         244
        .size:           4
        .value_kind:     by_value
      - .offset:         248
        .size:           4
        .value_kind:     by_value
      - .offset:         252
        .size:           4
        .value_kind:     by_value
      - .offset:         256
        .size:           4
        .value_kind:     by_value
      - .offset:         260
        .size:           4
        .value_kind:     by_value
      - .offset:         264
        .size:           4
        .value_kind:     by_value
      - .offset:         268
        .size:           4
        .value_kind:     by_value
      - .offset:         272
        .size:           4
        .value_kind:     hidden_block_count_x
      - .offset:         276
        .size:           4
        .value_kind:     hidden_block_count_y
      - .offset:         280
        .size:           4
        .value_kind:     hidden_block_count_z
      - .offset:         284
        .size:           2
        .value_kind:     hidden_group_size_x
      - .offset:         286
        .size:           2
        .value_kind:     hidden_group_size_y
      - .offset:         288
        .size:           2
        .value_kind:     hidden_group_size_z
      - .offset:         290
        .size:           2
        .value_kind:     hidden_remainder_x
      - .offset:         292
        .size:           2
        .value_kind:     hidden_remainder_y
      - .offset:         294
        .size:           2
        .value_kind:     hidden_remainder_z
      - .offset:         312
        .size:           8
        .value_kind:     hidden_global_offset_x
      - .offset:         320
        .size:           8
        .value_kind:     hidden_global_offset_y
      - .offset:         328
        .size:           8
        .value_kind:     hidden_global_offset_z
      - .offset:         336
        .size:           2
        .value_kind:     hidden_grid_dims
    .group_segment_fixed_size: 0
    .kernarg_segment_align: 8
    .kernarg_segment_size: 528
    .language:       OpenCL C
    .language_version:
      - 2
      - 0
    .max_flat_workgroup_size: 1024
    .name:           naive_conv_ab_nonpacked_wrw_ncdhw_half_double_half
    .private_segment_fixed_size: 0
    .sgpr_count:     100
    .sgpr_spill_count: 2
    .symbol:         naive_conv_ab_nonpacked_wrw_ncdhw_half_double_half.kd
    .uniform_work_group_size: 1
    .uses_dynamic_stack: false
    .vgpr_count:     33
    .vgpr_spill_count: 0
    .wavefront_size: 64
  - .args:
      - .actual_access:  read_only
        .address_space:  global
        .offset:         0
        .size:           8
        .value_kind:     global_buffer
      - .address_space:  global
        .offset:         8
        .size:           8
        .value_kind:     global_buffer
      - .offset:         16
        .size:           8
        .value_kind:     by_value
      - .offset:         24
        .size:           8
        .value_kind:     by_value
      - .actual_access:  read_only
        .address_space:  global
        .offset:         32
        .size:           8
        .value_kind:     global_buffer
      - .offset:         40
        .size:           48
        .value_kind:     by_value
      - .offset:         88
        .size:           48
        .value_kind:     by_value
      - .offset:         136
        .size:           48
        .value_kind:     by_value
      - .offset:         184
        .size:           4
        .value_kind:     by_value
      - .offset:         188
        .size:           4
        .value_kind:     by_value
      - .offset:         192
        .size:           4
        .value_kind:     by_value
      - .offset:         196
        .size:           4
        .value_kind:     by_value
      - .offset:         200
        .size:           4
        .value_kind:     by_value
      - .offset:         204
        .size:           4
        .value_kind:     by_value
      - .offset:         208
        .size:           4
        .value_kind:     by_value
      - .offset:         212
        .size:           4
        .value_kind:     by_value
      - .offset:         216
        .size:           4
        .value_kind:     by_value
      - .offset:         220
        .size:           4
        .value_kind:     by_value
      - .offset:         224
        .size:           4
        .value_kind:     by_value
      - .offset:         228
        .size:           4
        .value_kind:     by_value
      - .offset:         232
        .size:           4
        .value_kind:     by_value
      - .offset:         236
        .size:           4
        .value_kind:     by_value
      - .offset:         240
        .size:           4
        .value_kind:     by_value
      - .offset:         244
        .size:           4
        .value_kind:     by_value
      - .offset:         248
        .size:           4
        .value_kind:     by_value
      - .offset:         252
        .size:           4
        .value_kind:     by_value
      - .offset:         256
        .size:           4
        .value_kind:     by_value
      - .offset:         260
        .size:           4
        .value_kind:     by_value
      - .offset:         264
        .size:           4
        .value_kind:     by_value
      - .offset:         268
        .size:           4
        .value_kind:     by_value
      - .offset:         272
        .size:           4
        .value_kind:     hidden_block_count_x
      - .offset:         276
        .size:           4
        .value_kind:     hidden_block_count_y
      - .offset:         280
        .size:           4
        .value_kind:     hidden_block_count_z
      - .offset:         284
        .size:           2
        .value_kind:     hidden_group_size_x
      - .offset:         286
        .size:           2
        .value_kind:     hidden_group_size_y
      - .offset:         288
        .size:           2
        .value_kind:     hidden_group_size_z
      - .offset:         290
        .size:           2
        .value_kind:     hidden_remainder_x
      - .offset:         292
        .size:           2
        .value_kind:     hidden_remainder_y
      - .offset:         294
        .size:           2
        .value_kind:     hidden_remainder_z
      - .offset:         312
        .size:           8
        .value_kind:     hidden_global_offset_x
      - .offset:         320
        .size:           8
        .value_kind:     hidden_global_offset_y
      - .offset:         328
        .size:           8
        .value_kind:     hidden_global_offset_z
      - .offset:         336
        .size:           2
        .value_kind:     hidden_grid_dims
    .group_segment_fixed_size: 0
    .kernarg_segment_align: 8
    .kernarg_segment_size: 528
    .language:       OpenCL C
    .language_version:
      - 2
      - 0
    .max_flat_workgroup_size: 1024
    .name:           naive_conv_ab_packed_wrw_ncdhw_ushort_double_ushort
    .private_segment_fixed_size: 0
    .sgpr_count:     90
    .sgpr_spill_count: 0
    .symbol:         naive_conv_ab_packed_wrw_ncdhw_ushort_double_ushort.kd
    .uniform_work_group_size: 1
    .uses_dynamic_stack: false
    .vgpr_count:     28
    .vgpr_spill_count: 0
    .wavefront_size: 64
  - .args:
      - .actual_access:  read_only
        .address_space:  global
        .offset:         0
        .size:           8
        .value_kind:     global_buffer
      - .address_space:  global
        .offset:         8
        .size:           8
        .value_kind:     global_buffer
      - .offset:         16
        .size:           8
        .value_kind:     by_value
      - .offset:         24
        .size:           8
        .value_kind:     by_value
      - .actual_access:  read_only
        .address_space:  global
        .offset:         32
        .size:           8
        .value_kind:     global_buffer
      - .offset:         40
        .size:           48
        .value_kind:     by_value
      - .offset:         88
        .size:           48
        .value_kind:     by_value
      - .offset:         136
        .size:           48
        .value_kind:     by_value
      - .offset:         184
        .size:           4
        .value_kind:     by_value
      - .offset:         188
        .size:           4
        .value_kind:     by_value
      - .offset:         192
        .size:           4
        .value_kind:     by_value
      - .offset:         196
        .size:           4
        .value_kind:     by_value
      - .offset:         200
        .size:           4
        .value_kind:     by_value
      - .offset:         204
        .size:           4
        .value_kind:     by_value
      - .offset:         208
        .size:           4
        .value_kind:     by_value
      - .offset:         212
        .size:           4
        .value_kind:     by_value
      - .offset:         216
        .size:           4
        .value_kind:     by_value
      - .offset:         220
        .size:           4
        .value_kind:     by_value
      - .offset:         224
        .size:           4
        .value_kind:     by_value
      - .offset:         228
        .size:           4
        .value_kind:     by_value
      - .offset:         232
        .size:           4
        .value_kind:     by_value
      - .offset:         236
        .size:           4
        .value_kind:     by_value
      - .offset:         240
        .size:           4
        .value_kind:     by_value
      - .offset:         244
        .size:           4
        .value_kind:     by_value
      - .offset:         248
        .size:           4
        .value_kind:     by_value
      - .offset:         252
        .size:           4
        .value_kind:     by_value
      - .offset:         256
        .size:           4
        .value_kind:     by_value
      - .offset:         260
        .size:           4
        .value_kind:     by_value
      - .offset:         264
        .size:           4
        .value_kind:     by_value
      - .offset:         268
        .size:           4
        .value_kind:     by_value
      - .offset:         272
        .size:           4
        .value_kind:     hidden_block_count_x
      - .offset:         276
        .size:           4
        .value_kind:     hidden_block_count_y
      - .offset:         280
        .size:           4
        .value_kind:     hidden_block_count_z
      - .offset:         284
        .size:           2
        .value_kind:     hidden_group_size_x
      - .offset:         286
        .size:           2
        .value_kind:     hidden_group_size_y
      - .offset:         288
        .size:           2
        .value_kind:     hidden_group_size_z
      - .offset:         290
        .size:           2
        .value_kind:     hidden_remainder_x
      - .offset:         292
        .size:           2
        .value_kind:     hidden_remainder_y
      - .offset:         294
        .size:           2
        .value_kind:     hidden_remainder_z
      - .offset:         312
        .size:           8
        .value_kind:     hidden_global_offset_x
      - .offset:         320
        .size:           8
        .value_kind:     hidden_global_offset_y
      - .offset:         328
        .size:           8
        .value_kind:     hidden_global_offset_z
      - .offset:         336
        .size:           2
        .value_kind:     hidden_grid_dims
    .group_segment_fixed_size: 0
    .kernarg_segment_align: 8
    .kernarg_segment_size: 528
    .language:       OpenCL C
    .language_version:
      - 2
      - 0
    .max_flat_workgroup_size: 1024
    .name:           naive_conv_ab_nonpacked_wrw_ncdhw_ushort_double_ushort
    .private_segment_fixed_size: 0
    .sgpr_count:     99
    .sgpr_spill_count: 0
    .symbol:         naive_conv_ab_nonpacked_wrw_ncdhw_ushort_double_ushort.kd
    .uniform_work_group_size: 1
    .uses_dynamic_stack: false
    .vgpr_count:     30
    .vgpr_spill_count: 0
    .wavefront_size: 64
  - .args:
      - .actual_access:  read_only
        .address_space:  global
        .offset:         0
        .size:           8
        .value_kind:     global_buffer
      - .address_space:  global
        .offset:         8
        .size:           8
        .value_kind:     global_buffer
      - .offset:         16
        .size:           8
        .value_kind:     by_value
      - .offset:         24
        .size:           8
        .value_kind:     by_value
      - .actual_access:  read_only
        .address_space:  global
        .offset:         32
        .size:           8
        .value_kind:     global_buffer
      - .offset:         40
        .size:           48
        .value_kind:     by_value
      - .offset:         88
        .size:           48
        .value_kind:     by_value
      - .offset:         136
        .size:           48
        .value_kind:     by_value
      - .offset:         184
        .size:           4
        .value_kind:     by_value
      - .offset:         188
        .size:           4
        .value_kind:     by_value
      - .offset:         192
        .size:           4
        .value_kind:     by_value
      - .offset:         196
        .size:           4
        .value_kind:     by_value
      - .offset:         200
        .size:           4
        .value_kind:     by_value
      - .offset:         204
        .size:           4
        .value_kind:     by_value
      - .offset:         208
        .size:           4
        .value_kind:     by_value
      - .offset:         212
        .size:           4
        .value_kind:     by_value
      - .offset:         216
        .size:           4
        .value_kind:     by_value
      - .offset:         220
        .size:           4
        .value_kind:     by_value
      - .offset:         224
        .size:           4
        .value_kind:     by_value
      - .offset:         228
        .size:           4
        .value_kind:     by_value
      - .offset:         232
        .size:           4
        .value_kind:     by_value
      - .offset:         236
        .size:           4
        .value_kind:     by_value
      - .offset:         240
        .size:           4
        .value_kind:     by_value
      - .offset:         244
        .size:           4
        .value_kind:     by_value
      - .offset:         248
        .size:           4
        .value_kind:     by_value
      - .offset:         252
        .size:           4
        .value_kind:     by_value
      - .offset:         256
        .size:           4
        .value_kind:     by_value
      - .offset:         260
        .size:           4
        .value_kind:     by_value
      - .offset:         264
        .size:           4
        .value_kind:     by_value
      - .offset:         268
        .size:           4
        .value_kind:     by_value
      - .offset:         272
        .size:           4
        .value_kind:     hidden_block_count_x
      - .offset:         276
        .size:           4
        .value_kind:     hidden_block_count_y
      - .offset:         280
        .size:           4
        .value_kind:     hidden_block_count_z
      - .offset:         284
        .size:           2
        .value_kind:     hidden_group_size_x
      - .offset:         286
        .size:           2
        .value_kind:     hidden_group_size_y
      - .offset:         288
        .size:           2
        .value_kind:     hidden_group_size_z
      - .offset:         290
        .size:           2
        .value_kind:     hidden_remainder_x
      - .offset:         292
        .size:           2
        .value_kind:     hidden_remainder_y
      - .offset:         294
        .size:           2
        .value_kind:     hidden_remainder_z
      - .offset:         312
        .size:           8
        .value_kind:     hidden_global_offset_x
      - .offset:         320
        .size:           8
        .value_kind:     hidden_global_offset_y
      - .offset:         328
        .size:           8
        .value_kind:     hidden_global_offset_z
      - .offset:         336
        .size:           2
        .value_kind:     hidden_grid_dims
    .group_segment_fixed_size: 0
    .kernarg_segment_align: 8
    .kernarg_segment_size: 528
    .language:       OpenCL C
    .language_version:
      - 2
      - 0
    .max_flat_workgroup_size: 1024
    .name:           naive_conv_ab_packed_wrw_ndhwc_float_double_float
    .private_segment_fixed_size: 0
    .sgpr_count:     96
    .sgpr_spill_count: 0
    .symbol:         naive_conv_ab_packed_wrw_ndhwc_float_double_float.kd
    .uniform_work_group_size: 1
    .uses_dynamic_stack: false
    .vgpr_count:     27
    .vgpr_spill_count: 0
    .wavefront_size: 64
  - .args:
      - .actual_access:  read_only
        .address_space:  global
        .offset:         0
        .size:           8
        .value_kind:     global_buffer
      - .address_space:  global
        .offset:         8
        .size:           8
        .value_kind:     global_buffer
      - .offset:         16
        .size:           8
        .value_kind:     by_value
      - .offset:         24
        .size:           8
        .value_kind:     by_value
      - .actual_access:  read_only
        .address_space:  global
        .offset:         32
        .size:           8
        .value_kind:     global_buffer
      - .offset:         40
        .size:           48
        .value_kind:     by_value
      - .offset:         88
        .size:           48
        .value_kind:     by_value
      - .offset:         136
        .size:           48
        .value_kind:     by_value
      - .offset:         184
        .size:           4
        .value_kind:     by_value
      - .offset:         188
        .size:           4
        .value_kind:     by_value
      - .offset:         192
        .size:           4
        .value_kind:     by_value
      - .offset:         196
        .size:           4
        .value_kind:     by_value
      - .offset:         200
        .size:           4
        .value_kind:     by_value
      - .offset:         204
        .size:           4
        .value_kind:     by_value
      - .offset:         208
        .size:           4
        .value_kind:     by_value
      - .offset:         212
        .size:           4
        .value_kind:     by_value
      - .offset:         216
        .size:           4
        .value_kind:     by_value
      - .offset:         220
        .size:           4
        .value_kind:     by_value
      - .offset:         224
        .size:           4
        .value_kind:     by_value
      - .offset:         228
        .size:           4
        .value_kind:     by_value
      - .offset:         232
        .size:           4
        .value_kind:     by_value
      - .offset:         236
        .size:           4
        .value_kind:     by_value
      - .offset:         240
        .size:           4
        .value_kind:     by_value
      - .offset:         244
        .size:           4
        .value_kind:     by_value
      - .offset:         248
        .size:           4
        .value_kind:     by_value
      - .offset:         252
        .size:           4
        .value_kind:     by_value
      - .offset:         256
        .size:           4
        .value_kind:     by_value
      - .offset:         260
        .size:           4
        .value_kind:     by_value
      - .offset:         264
        .size:           4
        .value_kind:     by_value
      - .offset:         268
        .size:           4
        .value_kind:     by_value
      - .offset:         272
        .size:           4
        .value_kind:     hidden_block_count_x
      - .offset:         276
        .size:           4
        .value_kind:     hidden_block_count_y
      - .offset:         280
        .size:           4
        .value_kind:     hidden_block_count_z
      - .offset:         284
        .size:           2
        .value_kind:     hidden_group_size_x
      - .offset:         286
        .size:           2
        .value_kind:     hidden_group_size_y
      - .offset:         288
        .size:           2
        .value_kind:     hidden_group_size_z
      - .offset:         290
        .size:           2
        .value_kind:     hidden_remainder_x
      - .offset:         292
        .size:           2
        .value_kind:     hidden_remainder_y
      - .offset:         294
        .size:           2
        .value_kind:     hidden_remainder_z
      - .offset:         312
        .size:           8
        .value_kind:     hidden_global_offset_x
      - .offset:         320
        .size:           8
        .value_kind:     hidden_global_offset_y
      - .offset:         328
        .size:           8
        .value_kind:     hidden_global_offset_z
      - .offset:         336
        .size:           2
        .value_kind:     hidden_grid_dims
    .group_segment_fixed_size: 0
    .kernarg_segment_align: 8
    .kernarg_segment_size: 528
    .language:       OpenCL C
    .language_version:
      - 2
      - 0
    .max_flat_workgroup_size: 1024
    .name:           naive_conv_ab_nonpacked_wrw_ndhwc_float_double_float
    .private_segment_fixed_size: 0
    .sgpr_count:     100
    .sgpr_spill_count: 0
    .symbol:         naive_conv_ab_nonpacked_wrw_ndhwc_float_double_float.kd
    .uniform_work_group_size: 1
    .uses_dynamic_stack: false
    .vgpr_count:     29
    .vgpr_spill_count: 0
    .wavefront_size: 64
  - .args:
      - .actual_access:  read_only
        .address_space:  global
        .offset:         0
        .size:           8
        .value_kind:     global_buffer
      - .address_space:  global
        .offset:         8
        .size:           8
        .value_kind:     global_buffer
      - .offset:         16
        .size:           8
        .value_kind:     by_value
      - .offset:         24
        .size:           8
        .value_kind:     by_value
      - .actual_access:  read_only
        .address_space:  global
        .offset:         32
        .size:           8
        .value_kind:     global_buffer
      - .offset:         40
        .size:           48
        .value_kind:     by_value
      - .offset:         88
        .size:           48
        .value_kind:     by_value
      - .offset:         136
        .size:           48
        .value_kind:     by_value
      - .offset:         184
        .size:           4
        .value_kind:     by_value
      - .offset:         188
        .size:           4
        .value_kind:     by_value
      - .offset:         192
        .size:           4
        .value_kind:     by_value
      - .offset:         196
        .size:           4
        .value_kind:     by_value
      - .offset:         200
        .size:           4
        .value_kind:     by_value
      - .offset:         204
        .size:           4
        .value_kind:     by_value
      - .offset:         208
        .size:           4
        .value_kind:     by_value
      - .offset:         212
        .size:           4
        .value_kind:     by_value
      - .offset:         216
        .size:           4
        .value_kind:     by_value
      - .offset:         220
        .size:           4
        .value_kind:     by_value
      - .offset:         224
        .size:           4
        .value_kind:     by_value
      - .offset:         228
        .size:           4
        .value_kind:     by_value
      - .offset:         232
        .size:           4
        .value_kind:     by_value
      - .offset:         236
        .size:           4
        .value_kind:     by_value
      - .offset:         240
        .size:           4
        .value_kind:     by_value
      - .offset:         244
        .size:           4
        .value_kind:     by_value
      - .offset:         248
        .size:           4
        .value_kind:     by_value
      - .offset:         252
        .size:           4
        .value_kind:     by_value
      - .offset:         256
        .size:           4
        .value_kind:     by_value
      - .offset:         260
        .size:           4
        .value_kind:     by_value
      - .offset:         264
        .size:           4
        .value_kind:     by_value
      - .offset:         268
        .size:           4
        .value_kind:     by_value
      - .offset:         272
        .size:           4
        .value_kind:     hidden_block_count_x
      - .offset:         276
        .size:           4
        .value_kind:     hidden_block_count_y
      - .offset:         280
        .size:           4
        .value_kind:     hidden_block_count_z
      - .offset:         284
        .size:           2
        .value_kind:     hidden_group_size_x
      - .offset:         286
        .size:           2
        .value_kind:     hidden_group_size_y
      - .offset:         288
        .size:           2
        .value_kind:     hidden_group_size_z
      - .offset:         290
        .size:           2
        .value_kind:     hidden_remainder_x
      - .offset:         292
        .size:           2
        .value_kind:     hidden_remainder_y
      - .offset:         294
        .size:           2
        .value_kind:     hidden_remainder_z
      - .offset:         312
        .size:           8
        .value_kind:     hidden_global_offset_x
      - .offset:         320
        .size:           8
        .value_kind:     hidden_global_offset_y
      - .offset:         328
        .size:           8
        .value_kind:     hidden_global_offset_z
      - .offset:         336
        .size:           2
        .value_kind:     hidden_grid_dims
    .group_segment_fixed_size: 0
    .kernarg_segment_align: 8
    .kernarg_segment_size: 528
    .language:       OpenCL C
    .language_version:
      - 2
      - 0
    .max_flat_workgroup_size: 1024
    .name:           naive_conv_ab_packed_wrw_ndhwc_half_double_half
    .private_segment_fixed_size: 0
    .sgpr_count:     100
    .sgpr_spill_count: 0
    .symbol:         naive_conv_ab_packed_wrw_ndhwc_half_double_half.kd
    .uniform_work_group_size: 1
    .uses_dynamic_stack: false
    .vgpr_count:     30
    .vgpr_spill_count: 0
    .wavefront_size: 64
  - .args:
      - .actual_access:  read_only
        .address_space:  global
        .offset:         0
        .size:           8
        .value_kind:     global_buffer
      - .address_space:  global
        .offset:         8
        .size:           8
        .value_kind:     global_buffer
      - .offset:         16
        .size:           8
        .value_kind:     by_value
      - .offset:         24
        .size:           8
        .value_kind:     by_value
      - .actual_access:  read_only
        .address_space:  global
        .offset:         32
        .size:           8
        .value_kind:     global_buffer
      - .offset:         40
        .size:           48
        .value_kind:     by_value
      - .offset:         88
        .size:           48
        .value_kind:     by_value
      - .offset:         136
        .size:           48
        .value_kind:     by_value
      - .offset:         184
        .size:           4
        .value_kind:     by_value
      - .offset:         188
        .size:           4
        .value_kind:     by_value
      - .offset:         192
        .size:           4
        .value_kind:     by_value
      - .offset:         196
        .size:           4
        .value_kind:     by_value
      - .offset:         200
        .size:           4
        .value_kind:     by_value
      - .offset:         204
        .size:           4
        .value_kind:     by_value
      - .offset:         208
        .size:           4
        .value_kind:     by_value
      - .offset:         212
        .size:           4
        .value_kind:     by_value
      - .offset:         216
        .size:           4
        .value_kind:     by_value
      - .offset:         220
        .size:           4
        .value_kind:     by_value
      - .offset:         224
        .size:           4
        .value_kind:     by_value
      - .offset:         228
        .size:           4
        .value_kind:     by_value
      - .offset:         232
        .size:           4
        .value_kind:     by_value
      - .offset:         236
        .size:           4
        .value_kind:     by_value
      - .offset:         240
        .size:           4
        .value_kind:     by_value
      - .offset:         244
        .size:           4
        .value_kind:     by_value
      - .offset:         248
        .size:           4
        .value_kind:     by_value
      - .offset:         252
        .size:           4
        .value_kind:     by_value
      - .offset:         256
        .size:           4
        .value_kind:     by_value
      - .offset:         260
        .size:           4
        .value_kind:     by_value
      - .offset:         264
        .size:           4
        .value_kind:     by_value
      - .offset:         268
        .size:           4
        .value_kind:     by_value
      - .offset:         272
        .size:           4
        .value_kind:     hidden_block_count_x
      - .offset:         276
        .size:           4
        .value_kind:     hidden_block_count_y
      - .offset:         280
        .size:           4
        .value_kind:     hidden_block_count_z
      - .offset:         284
        .size:           2
        .value_kind:     hidden_group_size_x
      - .offset:         286
        .size:           2
        .value_kind:     hidden_group_size_y
      - .offset:         288
        .size:           2
        .value_kind:     hidden_group_size_z
      - .offset:         290
        .size:           2
        .value_kind:     hidden_remainder_x
      - .offset:         292
        .size:           2
        .value_kind:     hidden_remainder_y
      - .offset:         294
        .size:           2
        .value_kind:     hidden_remainder_z
      - .offset:         312
        .size:           8
        .value_kind:     hidden_global_offset_x
      - .offset:         320
        .size:           8
        .value_kind:     hidden_global_offset_y
      - .offset:         328
        .size:           8
        .value_kind:     hidden_global_offset_z
      - .offset:         336
        .size:           2
        .value_kind:     hidden_grid_dims
    .group_segment_fixed_size: 0
    .kernarg_segment_align: 8
    .kernarg_segment_size: 528
    .language:       OpenCL C
    .language_version:
      - 2
      - 0
    .max_flat_workgroup_size: 1024
    .name:           naive_conv_ab_nonpacked_wrw_ndhwc_half_double_half
    .private_segment_fixed_size: 0
    .sgpr_count:     100
    .sgpr_spill_count: 2
    .symbol:         naive_conv_ab_nonpacked_wrw_ndhwc_half_double_half.kd
    .uniform_work_group_size: 1
    .uses_dynamic_stack: false
    .vgpr_count:     33
    .vgpr_spill_count: 0
    .wavefront_size: 64
  - .args:
      - .actual_access:  read_only
        .address_space:  global
        .offset:         0
        .size:           8
        .value_kind:     global_buffer
      - .address_space:  global
        .offset:         8
        .size:           8
        .value_kind:     global_buffer
      - .offset:         16
        .size:           8
        .value_kind:     by_value
      - .offset:         24
        .size:           8
        .value_kind:     by_value
      - .actual_access:  read_only
        .address_space:  global
        .offset:         32
        .size:           8
        .value_kind:     global_buffer
      - .offset:         40
        .size:           48
        .value_kind:     by_value
      - .offset:         88
        .size:           48
        .value_kind:     by_value
      - .offset:         136
        .size:           48
        .value_kind:     by_value
      - .offset:         184
        .size:           4
        .value_kind:     by_value
      - .offset:         188
        .size:           4
        .value_kind:     by_value
      - .offset:         192
        .size:           4
        .value_kind:     by_value
      - .offset:         196
        .size:           4
        .value_kind:     by_value
      - .offset:         200
        .size:           4
        .value_kind:     by_value
      - .offset:         204
        .size:           4
        .value_kind:     by_value
      - .offset:         208
        .size:           4
        .value_kind:     by_value
      - .offset:         212
        .size:           4
        .value_kind:     by_value
      - .offset:         216
        .size:           4
        .value_kind:     by_value
      - .offset:         220
        .size:           4
        .value_kind:     by_value
      - .offset:         224
        .size:           4
        .value_kind:     by_value
      - .offset:         228
        .size:           4
        .value_kind:     by_value
      - .offset:         232
        .size:           4
        .value_kind:     by_value
      - .offset:         236
        .size:           4
        .value_kind:     by_value
      - .offset:         240
        .size:           4
        .value_kind:     by_value
      - .offset:         244
        .size:           4
        .value_kind:     by_value
      - .offset:         248
        .size:           4
        .value_kind:     by_value
      - .offset:         252
        .size:           4
        .value_kind:     by_value
      - .offset:         256
        .size:           4
        .value_kind:     by_value
      - .offset:         260
        .size:           4
        .value_kind:     by_value
      - .offset:         264
        .size:           4
        .value_kind:     by_value
      - .offset:         268
        .size:           4
        .value_kind:     by_value
      - .offset:         272
        .size:           4
        .value_kind:     hidden_block_count_x
      - .offset:         276
        .size:           4
        .value_kind:     hidden_block_count_y
      - .offset:         280
        .size:           4
        .value_kind:     hidden_block_count_z
      - .offset:         284
        .size:           2
        .value_kind:     hidden_group_size_x
      - .offset:         286
        .size:           2
        .value_kind:     hidden_group_size_y
      - .offset:         288
        .size:           2
        .value_kind:     hidden_group_size_z
      - .offset:         290
        .size:           2
        .value_kind:     hidden_remainder_x
      - .offset:         292
        .size:           2
        .value_kind:     hidden_remainder_y
      - .offset:         294
        .size:           2
        .value_kind:     hidden_remainder_z
      - .offset:         312
        .size:           8
        .value_kind:     hidden_global_offset_x
      - .offset:         320
        .size:           8
        .value_kind:     hidden_global_offset_y
      - .offset:         328
        .size:           8
        .value_kind:     hidden_global_offset_z
      - .offset:         336
        .size:           2
        .value_kind:     hidden_grid_dims
    .group_segment_fixed_size: 0
    .kernarg_segment_align: 8
    .kernarg_segment_size: 528
    .language:       OpenCL C
    .language_version:
      - 2
      - 0
    .max_flat_workgroup_size: 1024
    .name:           naive_conv_ab_packed_wrw_ndhwc_ushort_double_ushort
    .private_segment_fixed_size: 0
    .sgpr_count:     96
    .sgpr_spill_count: 0
    .symbol:         naive_conv_ab_packed_wrw_ndhwc_ushort_double_ushort.kd
    .uniform_work_group_size: 1
    .uses_dynamic_stack: false
    .vgpr_count:     28
    .vgpr_spill_count: 0
    .wavefront_size: 64
  - .args:
      - .actual_access:  read_only
        .address_space:  global
        .offset:         0
        .size:           8
        .value_kind:     global_buffer
      - .address_space:  global
        .offset:         8
        .size:           8
        .value_kind:     global_buffer
      - .offset:         16
        .size:           8
        .value_kind:     by_value
      - .offset:         24
        .size:           8
        .value_kind:     by_value
      - .actual_access:  read_only
        .address_space:  global
        .offset:         32
        .size:           8
        .value_kind:     global_buffer
      - .offset:         40
        .size:           48
        .value_kind:     by_value
      - .offset:         88
        .size:           48
        .value_kind:     by_value
      - .offset:         136
        .size:           48
        .value_kind:     by_value
      - .offset:         184
        .size:           4
        .value_kind:     by_value
      - .offset:         188
        .size:           4
        .value_kind:     by_value
      - .offset:         192
        .size:           4
        .value_kind:     by_value
      - .offset:         196
        .size:           4
        .value_kind:     by_value
      - .offset:         200
        .size:           4
        .value_kind:     by_value
      - .offset:         204
        .size:           4
        .value_kind:     by_value
      - .offset:         208
        .size:           4
        .value_kind:     by_value
      - .offset:         212
        .size:           4
        .value_kind:     by_value
      - .offset:         216
        .size:           4
        .value_kind:     by_value
      - .offset:         220
        .size:           4
        .value_kind:     by_value
      - .offset:         224
        .size:           4
        .value_kind:     by_value
      - .offset:         228
        .size:           4
        .value_kind:     by_value
      - .offset:         232
        .size:           4
        .value_kind:     by_value
      - .offset:         236
        .size:           4
        .value_kind:     by_value
      - .offset:         240
        .size:           4
        .value_kind:     by_value
      - .offset:         244
        .size:           4
        .value_kind:     by_value
      - .offset:         248
        .size:           4
        .value_kind:     by_value
      - .offset:         252
        .size:           4
        .value_kind:     by_value
      - .offset:         256
        .size:           4
        .value_kind:     by_value
      - .offset:         260
        .size:           4
        .value_kind:     by_value
      - .offset:         264
        .size:           4
        .value_kind:     by_value
      - .offset:         268
        .size:           4
        .value_kind:     by_value
      - .offset:         272
        .size:           4
        .value_kind:     hidden_block_count_x
      - .offset:         276
        .size:           4
        .value_kind:     hidden_block_count_y
      - .offset:         280
        .size:           4
        .value_kind:     hidden_block_count_z
      - .offset:         284
        .size:           2
        .value_kind:     hidden_group_size_x
      - .offset:         286
        .size:           2
        .value_kind:     hidden_group_size_y
      - .offset:         288
        .size:           2
        .value_kind:     hidden_group_size_z
      - .offset:         290
        .size:           2
        .value_kind:     hidden_remainder_x
      - .offset:         292
        .size:           2
        .value_kind:     hidden_remainder_y
      - .offset:         294
        .size:           2
        .value_kind:     hidden_remainder_z
      - .offset:         312
        .size:           8
        .value_kind:     hidden_global_offset_x
      - .offset:         320
        .size:           8
        .value_kind:     hidden_global_offset_y
      - .offset:         328
        .size:           8
        .value_kind:     hidden_global_offset_z
      - .offset:         336
        .size:           2
        .value_kind:     hidden_grid_dims
    .group_segment_fixed_size: 0
    .kernarg_segment_align: 8
    .kernarg_segment_size: 528
    .language:       OpenCL C
    .language_version:
      - 2
      - 0
    .max_flat_workgroup_size: 1024
    .name:           naive_conv_ab_nonpacked_wrw_ndhwc_ushort_double_ushort
    .private_segment_fixed_size: 0
    .sgpr_count:     99
    .sgpr_spill_count: 0
    .symbol:         naive_conv_ab_nonpacked_wrw_ndhwc_ushort_double_ushort.kd
    .uniform_work_group_size: 1
    .uses_dynamic_stack: false
    .vgpr_count:     30
    .vgpr_spill_count: 0
    .wavefront_size: 64
amdhsa.target:   amdgcn-amd-amdhsa--gfx906
amdhsa.version:
  - 1
  - 2
...

	.end_amdgpu_metadata
